;; amdgpu-corpus repo=ROCm/rocFFT kind=compiled arch=gfx1201 opt=O3
	.text
	.amdgcn_target "amdgcn-amd-amdhsa--gfx1201"
	.amdhsa_code_object_version 6
	.protected	fft_rtc_back_len3840_factors_10_6_2_2_2_2_2_2_wgs_128_tpt_128_halfLds_dp_ip_CI_unitstride_sbrr_dirReg ; -- Begin function fft_rtc_back_len3840_factors_10_6_2_2_2_2_2_2_wgs_128_tpt_128_halfLds_dp_ip_CI_unitstride_sbrr_dirReg
	.globl	fft_rtc_back_len3840_factors_10_6_2_2_2_2_2_2_wgs_128_tpt_128_halfLds_dp_ip_CI_unitstride_sbrr_dirReg
	.p2align	8
	.type	fft_rtc_back_len3840_factors_10_6_2_2_2_2_2_2_wgs_128_tpt_128_halfLds_dp_ip_CI_unitstride_sbrr_dirReg,@function
fft_rtc_back_len3840_factors_10_6_2_2_2_2_2_2_wgs_128_tpt_128_halfLds_dp_ip_CI_unitstride_sbrr_dirReg: ; @fft_rtc_back_len3840_factors_10_6_2_2_2_2_2_2_wgs_128_tpt_128_halfLds_dp_ip_CI_unitstride_sbrr_dirReg
; %bb.0:
	s_clause 0x2
	s_load_b128 s[4:7], s[0:1], 0x0
	s_load_b64 s[8:9], s[0:1], 0x50
	s_load_b64 s[10:11], s[0:1], 0x18
	v_mov_b32_e32 v3, 0
	v_mov_b32_e32 v1, 0
	v_dual_mov_b32 v2, 0 :: v_dual_mov_b32 v5, ttmp9
	s_mov_b32 s3, 0
	s_delay_alu instid0(VALU_DEP_3) | instskip(SKIP_2) | instid1(VALU_DEP_1)
	v_mov_b32_e32 v6, v3
	s_wait_kmcnt 0x0
	v_cmp_lt_u64_e64 s2, s[6:7], 2
	s_and_b32 vcc_lo, exec_lo, s2
	s_cbranch_vccnz .LBB0_8
; %bb.1:
	s_load_b64 s[14:15], s[0:1], 0x10
	v_mov_b32_e32 v1, 0
	v_mov_b32_e32 v2, 0
	s_add_nc_u64 s[12:13], s[10:11], 8
	s_mov_b64 s[16:17], 1
	s_wait_kmcnt 0x0
	s_add_nc_u64 s[14:15], s[14:15], 8
.LBB0_2:                                ; =>This Inner Loop Header: Depth=1
	s_load_b64 s[18:19], s[14:15], 0x0
                                        ; implicit-def: $vgpr7_vgpr8
	s_mov_b32 s2, exec_lo
	s_wait_kmcnt 0x0
	v_or_b32_e32 v4, s19, v6
	s_delay_alu instid0(VALU_DEP_1)
	v_cmpx_ne_u64_e32 0, v[3:4]
	s_wait_alu 0xfffe
	s_xor_b32 s20, exec_lo, s2
	s_cbranch_execz .LBB0_4
; %bb.3:                                ;   in Loop: Header=BB0_2 Depth=1
	s_cvt_f32_u32 s2, s18
	s_cvt_f32_u32 s21, s19
	s_sub_nc_u64 s[24:25], 0, s[18:19]
	s_wait_alu 0xfffe
	s_delay_alu instid0(SALU_CYCLE_1) | instskip(SKIP_1) | instid1(SALU_CYCLE_2)
	s_fmamk_f32 s2, s21, 0x4f800000, s2
	s_wait_alu 0xfffe
	v_s_rcp_f32 s2, s2
	s_delay_alu instid0(TRANS32_DEP_1) | instskip(SKIP_1) | instid1(SALU_CYCLE_2)
	s_mul_f32 s2, s2, 0x5f7ffffc
	s_wait_alu 0xfffe
	s_mul_f32 s21, s2, 0x2f800000
	s_wait_alu 0xfffe
	s_delay_alu instid0(SALU_CYCLE_2) | instskip(SKIP_1) | instid1(SALU_CYCLE_2)
	s_trunc_f32 s21, s21
	s_wait_alu 0xfffe
	s_fmamk_f32 s2, s21, 0xcf800000, s2
	s_cvt_u32_f32 s23, s21
	s_wait_alu 0xfffe
	s_delay_alu instid0(SALU_CYCLE_1) | instskip(SKIP_1) | instid1(SALU_CYCLE_2)
	s_cvt_u32_f32 s22, s2
	s_wait_alu 0xfffe
	s_mul_u64 s[26:27], s[24:25], s[22:23]
	s_wait_alu 0xfffe
	s_mul_hi_u32 s29, s22, s27
	s_mul_i32 s28, s22, s27
	s_mul_hi_u32 s2, s22, s26
	s_mul_i32 s30, s23, s26
	s_wait_alu 0xfffe
	s_add_nc_u64 s[28:29], s[2:3], s[28:29]
	s_mul_hi_u32 s21, s23, s26
	s_mul_hi_u32 s31, s23, s27
	s_add_co_u32 s2, s28, s30
	s_wait_alu 0xfffe
	s_add_co_ci_u32 s2, s29, s21
	s_mul_i32 s26, s23, s27
	s_add_co_ci_u32 s27, s31, 0
	s_wait_alu 0xfffe
	s_add_nc_u64 s[26:27], s[2:3], s[26:27]
	s_wait_alu 0xfffe
	v_add_co_u32 v4, s2, s22, s26
	s_delay_alu instid0(VALU_DEP_1) | instskip(SKIP_1) | instid1(VALU_DEP_1)
	s_cmp_lg_u32 s2, 0
	s_add_co_ci_u32 s23, s23, s27
	v_readfirstlane_b32 s22, v4
	s_wait_alu 0xfffe
	s_delay_alu instid0(VALU_DEP_1)
	s_mul_u64 s[24:25], s[24:25], s[22:23]
	s_wait_alu 0xfffe
	s_mul_hi_u32 s27, s22, s25
	s_mul_i32 s26, s22, s25
	s_mul_hi_u32 s2, s22, s24
	s_mul_i32 s28, s23, s24
	s_wait_alu 0xfffe
	s_add_nc_u64 s[26:27], s[2:3], s[26:27]
	s_mul_hi_u32 s21, s23, s24
	s_mul_hi_u32 s22, s23, s25
	s_wait_alu 0xfffe
	s_add_co_u32 s2, s26, s28
	s_add_co_ci_u32 s2, s27, s21
	s_mul_i32 s24, s23, s25
	s_add_co_ci_u32 s25, s22, 0
	s_wait_alu 0xfffe
	s_add_nc_u64 s[24:25], s[2:3], s[24:25]
	s_wait_alu 0xfffe
	v_add_co_u32 v4, s2, v4, s24
	s_delay_alu instid0(VALU_DEP_1) | instskip(SKIP_1) | instid1(VALU_DEP_1)
	s_cmp_lg_u32 s2, 0
	s_add_co_ci_u32 s2, s23, s25
	v_mul_hi_u32 v13, v5, v4
	s_wait_alu 0xfffe
	v_mad_co_u64_u32 v[7:8], null, v5, s2, 0
	v_mad_co_u64_u32 v[9:10], null, v6, v4, 0
	;; [unrolled: 1-line block ×3, first 2 shown]
	s_delay_alu instid0(VALU_DEP_3) | instskip(SKIP_1) | instid1(VALU_DEP_4)
	v_add_co_u32 v4, vcc_lo, v13, v7
	s_wait_alu 0xfffd
	v_add_co_ci_u32_e32 v7, vcc_lo, 0, v8, vcc_lo
	s_delay_alu instid0(VALU_DEP_2) | instskip(SKIP_1) | instid1(VALU_DEP_2)
	v_add_co_u32 v4, vcc_lo, v4, v9
	s_wait_alu 0xfffd
	v_add_co_ci_u32_e32 v4, vcc_lo, v7, v10, vcc_lo
	s_wait_alu 0xfffd
	v_add_co_ci_u32_e32 v7, vcc_lo, 0, v12, vcc_lo
	s_delay_alu instid0(VALU_DEP_2) | instskip(SKIP_1) | instid1(VALU_DEP_2)
	v_add_co_u32 v4, vcc_lo, v4, v11
	s_wait_alu 0xfffd
	v_add_co_ci_u32_e32 v9, vcc_lo, 0, v7, vcc_lo
	s_delay_alu instid0(VALU_DEP_2) | instskip(SKIP_1) | instid1(VALU_DEP_3)
	v_mul_lo_u32 v10, s19, v4
	v_mad_co_u64_u32 v[7:8], null, s18, v4, 0
	v_mul_lo_u32 v11, s18, v9
	s_delay_alu instid0(VALU_DEP_2) | instskip(NEXT) | instid1(VALU_DEP_2)
	v_sub_co_u32 v7, vcc_lo, v5, v7
	v_add3_u32 v8, v8, v11, v10
	s_delay_alu instid0(VALU_DEP_1) | instskip(SKIP_1) | instid1(VALU_DEP_1)
	v_sub_nc_u32_e32 v10, v6, v8
	s_wait_alu 0xfffd
	v_subrev_co_ci_u32_e64 v10, s2, s19, v10, vcc_lo
	v_add_co_u32 v11, s2, v4, 2
	s_wait_alu 0xf1ff
	v_add_co_ci_u32_e64 v12, s2, 0, v9, s2
	v_sub_co_u32 v13, s2, v7, s18
	v_sub_co_ci_u32_e32 v8, vcc_lo, v6, v8, vcc_lo
	s_wait_alu 0xf1ff
	v_subrev_co_ci_u32_e64 v10, s2, 0, v10, s2
	s_delay_alu instid0(VALU_DEP_3) | instskip(NEXT) | instid1(VALU_DEP_3)
	v_cmp_le_u32_e32 vcc_lo, s18, v13
	v_cmp_eq_u32_e64 s2, s19, v8
	s_wait_alu 0xfffd
	v_cndmask_b32_e64 v13, 0, -1, vcc_lo
	v_cmp_le_u32_e32 vcc_lo, s19, v10
	s_wait_alu 0xfffd
	v_cndmask_b32_e64 v14, 0, -1, vcc_lo
	v_cmp_le_u32_e32 vcc_lo, s18, v7
	;; [unrolled: 3-line block ×3, first 2 shown]
	s_wait_alu 0xfffd
	v_cndmask_b32_e64 v15, 0, -1, vcc_lo
	v_cmp_eq_u32_e32 vcc_lo, s19, v10
	s_wait_alu 0xf1ff
	s_delay_alu instid0(VALU_DEP_2)
	v_cndmask_b32_e64 v7, v15, v7, s2
	s_wait_alu 0xfffd
	v_cndmask_b32_e32 v10, v14, v13, vcc_lo
	v_add_co_u32 v13, vcc_lo, v4, 1
	s_wait_alu 0xfffd
	v_add_co_ci_u32_e32 v14, vcc_lo, 0, v9, vcc_lo
	s_delay_alu instid0(VALU_DEP_3) | instskip(SKIP_2) | instid1(VALU_DEP_3)
	v_cmp_ne_u32_e32 vcc_lo, 0, v10
	s_wait_alu 0xfffd
	v_cndmask_b32_e32 v10, v13, v11, vcc_lo
	v_cndmask_b32_e32 v8, v14, v12, vcc_lo
	v_cmp_ne_u32_e32 vcc_lo, 0, v7
	s_wait_alu 0xfffd
	s_delay_alu instid0(VALU_DEP_2)
	v_dual_cndmask_b32 v7, v4, v10 :: v_dual_cndmask_b32 v8, v9, v8
.LBB0_4:                                ;   in Loop: Header=BB0_2 Depth=1
	s_wait_alu 0xfffe
	s_and_not1_saveexec_b32 s2, s20
	s_cbranch_execz .LBB0_6
; %bb.5:                                ;   in Loop: Header=BB0_2 Depth=1
	v_cvt_f32_u32_e32 v4, s18
	s_sub_co_i32 s20, 0, s18
	s_delay_alu instid0(VALU_DEP_1) | instskip(NEXT) | instid1(TRANS32_DEP_1)
	v_rcp_iflag_f32_e32 v4, v4
	v_mul_f32_e32 v4, 0x4f7ffffe, v4
	s_delay_alu instid0(VALU_DEP_1) | instskip(SKIP_1) | instid1(VALU_DEP_1)
	v_cvt_u32_f32_e32 v4, v4
	s_wait_alu 0xfffe
	v_mul_lo_u32 v7, s20, v4
	s_delay_alu instid0(VALU_DEP_1) | instskip(NEXT) | instid1(VALU_DEP_1)
	v_mul_hi_u32 v7, v4, v7
	v_add_nc_u32_e32 v4, v4, v7
	s_delay_alu instid0(VALU_DEP_1) | instskip(NEXT) | instid1(VALU_DEP_1)
	v_mul_hi_u32 v4, v5, v4
	v_mul_lo_u32 v7, v4, s18
	v_add_nc_u32_e32 v8, 1, v4
	s_delay_alu instid0(VALU_DEP_2) | instskip(NEXT) | instid1(VALU_DEP_1)
	v_sub_nc_u32_e32 v7, v5, v7
	v_subrev_nc_u32_e32 v9, s18, v7
	v_cmp_le_u32_e32 vcc_lo, s18, v7
	s_wait_alu 0xfffd
	s_delay_alu instid0(VALU_DEP_2) | instskip(NEXT) | instid1(VALU_DEP_1)
	v_dual_cndmask_b32 v7, v7, v9 :: v_dual_cndmask_b32 v4, v4, v8
	v_cmp_le_u32_e32 vcc_lo, s18, v7
	s_delay_alu instid0(VALU_DEP_2) | instskip(SKIP_1) | instid1(VALU_DEP_1)
	v_add_nc_u32_e32 v8, 1, v4
	s_wait_alu 0xfffd
	v_dual_cndmask_b32 v7, v4, v8 :: v_dual_mov_b32 v8, v3
.LBB0_6:                                ;   in Loop: Header=BB0_2 Depth=1
	s_wait_alu 0xfffe
	s_or_b32 exec_lo, exec_lo, s2
	s_load_b64 s[20:21], s[12:13], 0x0
	s_delay_alu instid0(VALU_DEP_1)
	v_mul_lo_u32 v4, v8, s18
	v_mul_lo_u32 v11, v7, s19
	v_mad_co_u64_u32 v[9:10], null, v7, s18, 0
	s_add_nc_u64 s[16:17], s[16:17], 1
	s_add_nc_u64 s[12:13], s[12:13], 8
	s_wait_alu 0xfffe
	v_cmp_ge_u64_e64 s2, s[16:17], s[6:7]
	s_add_nc_u64 s[14:15], s[14:15], 8
	s_delay_alu instid0(VALU_DEP_2) | instskip(NEXT) | instid1(VALU_DEP_3)
	v_add3_u32 v4, v10, v11, v4
	v_sub_co_u32 v5, vcc_lo, v5, v9
	s_wait_alu 0xfffd
	s_delay_alu instid0(VALU_DEP_2) | instskip(SKIP_3) | instid1(VALU_DEP_2)
	v_sub_co_ci_u32_e32 v4, vcc_lo, v6, v4, vcc_lo
	s_and_b32 vcc_lo, exec_lo, s2
	s_wait_kmcnt 0x0
	v_mul_lo_u32 v6, s21, v5
	v_mul_lo_u32 v4, s20, v4
	v_mad_co_u64_u32 v[1:2], null, s20, v5, v[1:2]
	s_delay_alu instid0(VALU_DEP_1)
	v_add3_u32 v2, v6, v2, v4
	s_wait_alu 0xfffe
	s_cbranch_vccnz .LBB0_9
; %bb.7:                                ;   in Loop: Header=BB0_2 Depth=1
	v_dual_mov_b32 v5, v7 :: v_dual_mov_b32 v6, v8
	s_branch .LBB0_2
.LBB0_8:
	v_dual_mov_b32 v8, v6 :: v_dual_mov_b32 v7, v5
.LBB0_9:
	s_lshl_b64 s[2:3], s[6:7], 3
	v_or_b32_e32 v122, 0x80, v0
	s_wait_alu 0xfffe
	s_add_nc_u64 s[2:3], s[10:11], s[2:3]
	v_or_b32_e32 v124, 0x100, v0
	s_load_b64 s[2:3], s[2:3], 0x0
	s_load_b64 s[0:1], s[0:1], 0x20
	v_or_b32_e32 v143, 0x280, v0
	v_or_b32_e32 v134, 0x500, v0
	;; [unrolled: 1-line block ×12, first 2 shown]
	s_wait_kmcnt 0x0
	v_mul_lo_u32 v4, s2, v8
	v_mul_lo_u32 v5, s3, v7
	v_mad_co_u64_u32 v[2:3], null, s2, v7, v[1:2]
	v_cmp_gt_u64_e32 vcc_lo, s[0:1], v[7:8]
	v_cmp_le_u64_e64 s0, s[0:1], v[7:8]
	s_delay_alu instid0(VALU_DEP_3) | instskip(NEXT) | instid1(VALU_DEP_2)
	v_add3_u32 v3, v5, v3, v4
	s_and_saveexec_b32 s1, s0
	s_wait_alu 0xfffe
	s_xor_b32 s0, exec_lo, s1
	s_cbranch_execz .LBB0_11
; %bb.10:
	v_mov_b32_e32 v1, 0
	v_or_b32_e32 v122, 0x80, v0
	v_or_b32_e32 v124, 0x100, v0
	v_or_b32_e32 v143, 0x280, v0
	v_or_b32_e32 v134, 0x500, v0
	v_or_b32_e32 v147, 0x180, v0
	v_or_b32_e32 v145, 0x200, v0
	v_or_b32_e32 v141, 0x300, v0
	v_or_b32_e32 v128, 0x380, v0
	v_or_b32_e32 v130, 0x400, v0
	v_or_b32_e32 v131, 0x480, v0
	v_or_b32_e32 v133, 0x580, v0
	v_or_b32_e32 v136, 0x600, v0
	v_or_b32_e32 v138, 0x680, v0
	v_or_b32_e32 v140, 0x700, v0
	v_dual_mov_b32 v123, v1 :: v_dual_mov_b32 v148, v1
	v_dual_mov_b32 v125, v1 :: v_dual_mov_b32 v146, v1
	v_mov_b32_e32 v144, v1
	v_mov_b32_e32 v142, v1
.LBB0_11:
	s_wait_alu 0xfffe
	s_or_saveexec_b32 s1, s0
	v_lshlrev_b64_e32 v[126:127], 4, v[2:3]
	v_lshlrev_b32_e32 v177, 4, v0
                                        ; implicit-def: $vgpr8_vgpr9
                                        ; implicit-def: $vgpr4_vgpr5
                                        ; implicit-def: $vgpr12_vgpr13
                                        ; implicit-def: $vgpr16_vgpr17
                                        ; implicit-def: $vgpr28_vgpr29
                                        ; implicit-def: $vgpr24_vgpr25
                                        ; implicit-def: $vgpr40_vgpr41
                                        ; implicit-def: $vgpr20_vgpr21
                                        ; implicit-def: $vgpr36_vgpr37
                                        ; implicit-def: $vgpr32_vgpr33
                                        ; implicit-def: $vgpr68_vgpr69
                                        ; implicit-def: $vgpr88_vgpr89
                                        ; implicit-def: $vgpr52_vgpr53
                                        ; implicit-def: $vgpr56_vgpr57
                                        ; implicit-def: $vgpr84_vgpr85
                                        ; implicit-def: $vgpr100_vgpr101
                                        ; implicit-def: $vgpr44_vgpr45
                                        ; implicit-def: $vgpr96_vgpr97
                                        ; implicit-def: $vgpr92_vgpr93
                                        ; implicit-def: $vgpr48_vgpr49
                                        ; implicit-def: $vgpr76_vgpr77
                                        ; implicit-def: $vgpr72_vgpr73
                                        ; implicit-def: $vgpr108_vgpr109
                                        ; implicit-def: $vgpr80_vgpr81
                                        ; implicit-def: $vgpr112_vgpr113
                                        ; implicit-def: $vgpr116_vgpr117
                                        ; implicit-def: $vgpr60_vgpr61
                                        ; implicit-def: $vgpr120_vgpr121
                                        ; implicit-def: $vgpr104_vgpr105
                                        ; implicit-def: $vgpr64_vgpr65
	s_wait_alu 0xfffe
	s_xor_b32 exec_lo, exec_lo, s1
	s_cbranch_execz .LBB0_13
; %bb.12:
	s_delay_alu instid0(VALU_DEP_2) | instskip(SKIP_3) | instid1(VALU_DEP_3)
	v_add_co_u32 v3, s0, s8, v126
	s_wait_alu 0xf1ff
	v_add_co_ci_u32_e64 v4, s0, s9, v127, s0
	v_or_b32_e32 v1, 0x7800, v177
	v_add_co_u32 v6, s0, v3, v177
	v_lshlrev_b32_e32 v2, 4, v128
	s_wait_alu 0xf1ff
	v_add_co_ci_u32_e64 v7, s0, 0, v4, s0
	v_add_co_u32 v8, s0, v3, v1
	v_or_b32_e32 v5, 0xb800, v177
	s_wait_alu 0xf1ff
	v_add_co_ci_u32_e64 v9, s0, 0, v4, s0
	v_add_co_u32 v1, s0, v3, v2
	s_wait_alu 0xf1ff
	v_add_co_ci_u32_e64 v2, s0, 0, v4, s0
	v_add_co_u32 v3, s0, v3, v5
	s_wait_alu 0xf1ff
	v_add_co_ci_u32_e64 v4, s0, 0, v4, s0
	s_clause 0x1d
	global_load_b128 v[62:65], v[6:7], off
	global_load_b128 v[46:49], v[6:7], off offset:2048
	global_load_b128 v[58:61], v[6:7], off offset:18432
	;; [unrolled: 1-line block ×17, first 2 shown]
	global_load_b128 v[94:97], v[1:2], off
	global_load_b128 v[10:13], v[3:4], off
	global_load_b128 v[98:101], v[6:7], off offset:26624
	global_load_b128 v[22:25], v[6:7], off offset:28672
	;; [unrolled: 1-line block ×8, first 2 shown]
	global_load_b128 v[110:113], v[8:9], off
	global_load_b128 v[6:9], v[6:7], off offset:59392
	v_mov_b32_e32 v1, 0
	s_delay_alu instid0(VALU_DEP_1)
	v_dual_mov_b32 v148, v1 :: v_dual_mov_b32 v123, v1
	v_dual_mov_b32 v142, v1 :: v_dual_mov_b32 v125, v1
	v_mov_b32_e32 v146, v1
	v_mov_b32_e32 v144, v1
.LBB0_13:
	s_or_b32 exec_lo, exec_lo, s1
	s_wait_loadcnt 0xf
	v_add_f64_e32 v[149:150], v[118:119], v[62:63]
	v_add_f64_e32 v[151:152], v[120:121], v[64:65]
	v_add_f64_e32 v[153:154], v[58:59], v[102:103]
	v_add_f64_e32 v[155:156], v[60:61], v[104:105]
	s_wait_loadcnt 0xb
	v_add_f64_e32 v[157:158], v[94:95], v[46:47]
	v_add_f64_e32 v[159:160], v[96:97], v[48:49]
	v_add_f64_e32 v[165:166], v[80:81], v[116:117]
	v_add_f64_e32 v[167:168], v[72:73], v[120:121]
	;; [unrolled: 5-line block ×3, first 2 shown]
	v_add_f64_e32 v[163:164], v[70:71], v[118:119]
	v_add_f64_e64 v[169:170], v[120:121], -v[72:73]
	v_add_f64_e32 v[178:179], v[76:77], v[60:61]
	v_add_f64_e64 v[180:181], v[118:119], -v[114:115]
	v_add_f64_e64 v[182:183], v[114:115], -v[118:119]
	;; [unrolled: 1-line block ×3, first 2 shown]
	v_add_f64_e32 v[186:187], v[54:55], v[98:99]
	v_add_f64_e32 v[188:189], v[86:87], v[94:95]
	;; [unrolled: 1-line block ×4, first 2 shown]
	v_add_f64_e64 v[120:121], v[116:117], -v[120:121]
	v_add_f64_e64 v[194:195], v[70:71], -v[78:79]
	;; [unrolled: 1-line block ×4, first 2 shown]
	v_add_f64_e32 v[200:201], v[50:51], v[82:83]
	v_add_f64_e32 v[202:203], v[66:67], v[42:43]
	;; [unrolled: 1-line block ×4, first 2 shown]
	v_add_f64_e64 v[208:209], v[80:81], -v[72:73]
	v_add_f64_e32 v[216:217], v[42:43], v[90:91]
	v_add_f64_e64 v[118:119], v[118:119], -v[70:71]
	v_add_f64_e64 v[210:211], v[60:61], -v[76:77]
	;; [unrolled: 1-line block ×6, first 2 shown]
	v_add_f64_e32 v[149:150], v[114:115], v[149:150]
	v_add_f64_e32 v[151:152], v[116:117], v[151:152]
	;; [unrolled: 1-line block ×6, first 2 shown]
	v_add_f64_e64 v[116:117], v[116:117], -v[80:81]
	v_add_f64_e64 v[114:115], v[114:115], -v[78:79]
	v_fma_f64 v[165:166], v[165:166], -0.5, v[64:65]
	v_fma_f64 v[167:168], v[167:168], -0.5, v[64:65]
	;; [unrolled: 1-line block ×5, first 2 shown]
	v_add_f64_e32 v[175:176], v[44:45], v[92:93]
	v_fma_f64 v[161:162], v[161:162], -0.5, v[62:63]
	v_fma_f64 v[163:164], v[163:164], -0.5, v[62:63]
	v_add_f64_e64 v[112:113], v[112:113], -v[108:109]
	v_fma_f64 v[104:105], v[178:179], -0.5, v[104:105]
	v_add_f64_e64 v[178:179], v[74:75], -v[106:107]
	v_fma_f64 v[186:187], v[186:187], -0.5, v[46:47]
	v_fma_f64 v[188:189], v[188:189], -0.5, v[46:47]
	;; [unrolled: 1-line block ×4, first 2 shown]
	s_mov_b32 s10, 0x134454ff
	s_mov_b32 s11, 0xbfee6f0e
	;; [unrolled: 1-line block ×3, first 2 shown]
	v_fma_f64 v[200:201], v[200:201], -0.5, v[90:91]
	v_fma_f64 v[90:91], v[202:203], -0.5, v[90:91]
	;; [unrolled: 1-line block ×4, first 2 shown]
	v_add_f64_e64 v[204:205], v[94:95], -v[98:99]
	v_add_f64_e64 v[206:207], v[98:99], -v[94:95]
	s_mov_b32 s0, s10
	s_mov_b32 s6, 0x4755a5e
	;; [unrolled: 1-line block ×4, first 2 shown]
	s_wait_alu 0xfffe
	s_mov_b32 s2, s6
	v_add_f64_e32 v[120:121], v[208:209], v[120:121]
	v_add_f64_e32 v[78:79], v[78:79], v[149:150]
	;; [unrolled: 1-line block ×7, first 2 shown]
	v_add_f64_e64 v[149:150], v[58:59], -v[110:111]
	v_add_f64_e64 v[151:152], v[110:111], -v[58:59]
	;; [unrolled: 1-line block ×6, first 2 shown]
	v_add_f64_e32 v[208:209], v[12:13], v[28:29]
	s_mov_b32 s12, 0x372fe950
	s_mov_b32 s13, 0x3fd3c6ef
	;; [unrolled: 1-line block ×8, first 2 shown]
	v_and_b32_e32 v135, 0xff, v122
	v_and_b32_e32 v139, 0xffff, v147
	v_add_f64_e32 v[62:63], v[70:71], v[78:79]
	v_add_f64_e32 v[58:59], v[72:73], v[80:81]
	v_add_f64_e64 v[72:73], v[94:95], -v[86:87]
	v_add_f64_e64 v[78:79], v[96:97], -v[100:101]
	;; [unrolled: 1-line block ×6, first 2 shown]
	v_add_f64_e32 v[64:65], v[74:75], v[64:65]
	v_add_f64_e32 v[60:61], v[76:77], v[153:154]
	v_add_f64_e64 v[74:75], v[54:55], -v[86:87]
	v_add_f64_e64 v[76:77], v[88:89], -v[56:57]
	;; [unrolled: 1-line block ×4, first 2 shown]
	v_add_f64_e32 v[48:49], v[86:87], v[157:158]
	v_add_f64_e32 v[46:47], v[88:89], v[159:160]
	v_add_f64_e64 v[86:87], v[42:43], -v[82:83]
	v_add_f64_e64 v[88:89], v[82:83], -v[42:43]
	;; [unrolled: 1-line block ×5, first 2 shown]
	v_add_f64_e32 v[42:43], v[82:83], v[216:217]
	v_add_f64_e32 v[44:45], v[84:85], v[175:176]
	v_add_f64_e64 v[56:57], v[82:83], -v[50:51]
	v_add_f64_e64 v[84:85], v[84:85], -v[52:53]
	;; [unrolled: 1-line block ×4, first 2 shown]
	v_add_f64_e32 v[149:150], v[178:179], v[149:150]
	v_fma_f64 v[178:179], v[110:111], s[10:11], v[104:105]
	v_fma_f64 v[104:105], v[110:111], s[0:1], v[104:105]
	v_add_f64_e32 v[106:107], v[106:107], v[151:152]
	v_add_f64_e32 v[108:109], v[108:109], v[214:215]
	v_fma_f64 v[151:152], v[94:95], s[0:1], v[188:189]
	v_fma_f64 v[188:189], v[94:95], s[10:11], v[188:189]
	v_add_f64_e32 v[98:99], v[98:99], v[204:205]
	v_add_f64_e64 v[204:205], v[20:21], -v[4:5]
	v_add_f64_e32 v[74:75], v[74:75], v[206:207]
	v_add_f64_e32 v[76:77], v[76:77], v[78:79]
	;; [unrolled: 1-line block ×6, first 2 shown]
	v_add_f64_e64 v[50:51], v[68:69], -v[52:53]
	v_add_f64_e64 v[52:53], v[52:53], -v[68:69]
	v_add_f64_e32 v[86:87], v[159:160], v[86:87]
	v_add_f64_e32 v[159:160], v[14:15], v[22:23]
	v_add_f64_e32 v[88:89], v[175:176], v[88:89]
	s_wait_alu 0xfffe
	v_fma_f64 v[178:179], v[155:156], s[2:3], v[178:179]
	v_fma_f64 v[104:105], v[155:156], s[6:7], v[104:105]
	v_add_f64_e32 v[175:176], v[16:17], v[24:25]
	v_fma_f64 v[151:152], v[220:221], s[6:7], v[151:152]
	v_fma_f64 v[188:189], v[220:221], s[2:3], v[188:189]
	v_fma_f64 v[100:101], v[100:101], -0.5, v[34:35]
	v_add_f64_e32 v[44:45], v[66:67], v[42:43]
	v_add_f64_e32 v[42:43], v[68:69], v[82:83]
	v_fma_f64 v[68:69], v[169:170], s[10:11], v[161:162]
	v_fma_f64 v[82:83], v[169:170], s[0:1], v[161:162]
	;; [unrolled: 1-line block ×4, first 2 shown]
	v_add_f64_e32 v[66:67], v[194:195], v[180:181]
	v_add_f64_e32 v[180:181], v[198:199], v[184:185]
	v_fma_f64 v[184:185], v[112:113], s[0:1], v[102:103]
	v_fma_f64 v[102:103], v[112:113], s[10:11], v[102:103]
	;; [unrolled: 1-line block ×7, first 2 shown]
	v_add_f64_e32 v[52:53], v[52:53], v[157:158]
	v_fma_f64 v[104:105], v[108:109], s[12:13], v[104:105]
	v_add_f64_e32 v[50:51], v[50:51], v[54:55]
	v_fma_f64 v[68:69], v[116:117], s[6:7], v[68:69]
	v_fma_f64 v[82:83], v[116:117], s[2:3], v[82:83]
	v_fma_f64 v[161:162], v[169:170], s[6:7], v[161:162]
	v_fma_f64 v[163:164], v[169:170], s[2:3], v[163:164]
	v_fma_f64 v[169:170], v[118:119], s[0:1], v[165:166]
	v_fma_f64 v[165:166], v[118:119], s[10:11], v[165:166]
	v_add_f64_e32 v[116:117], v[196:197], v[182:183]
	v_fma_f64 v[182:183], v[114:115], s[10:11], v[167:168]
	v_fma_f64 v[167:168], v[114:115], s[0:1], v[167:168]
	;; [unrolled: 1-line block ×4, first 2 shown]
	v_add_f64_e32 v[196:197], v[218:219], v[212:213]
	v_fma_f64 v[78:79], v[96:97], s[2:3], v[194:195]
	v_fma_f64 v[96:97], v[96:97], s[6:7], v[190:191]
	s_wait_loadcnt 0x0
	v_add_f64_e32 v[190:191], v[6:7], v[38:39]
	v_fma_f64 v[194:195], v[72:73], s[2:3], v[198:199]
	v_fma_f64 v[198:199], v[70:71], s[0:1], v[200:201]
	;; [unrolled: 1-line block ×26, first 2 shown]
	v_add_f64_e32 v[173:174], v[8:9], v[40:41]
	v_fma_f64 v[163:164], v[120:121], s[12:13], v[182:183]
	v_fma_f64 v[118:119], v[120:121], s[12:13], v[118:119]
	v_add_f64_e64 v[169:170], v[26:27], -v[10:11]
	v_add_f64_e64 v[180:181], v[38:39], -v[6:7]
	v_fma_f64 v[182:183], v[153:154], s[0:1], v[202:203]
	v_fma_f64 v[165:166], v[149:150], s[12:13], v[165:166]
	;; [unrolled: 1-line block ×8, first 2 shown]
	v_fma_f64 v[120:121], v[173:174], -0.5, v[36:37]
	v_fma_f64 v[173:174], v[208:209], -0.5, v[36:37]
	v_fma_f64 v[149:150], v[106:107], s[12:13], v[184:185]
	v_fma_f64 v[167:168], v[196:197], s[12:13], v[167:168]
	;; [unrolled: 1-line block ×4, first 2 shown]
	v_fma_f64 v[110:111], v[190:191], -0.5, v[34:35]
	v_add_f64_e64 v[190:191], v[8:9], -v[12:13]
	v_fma_f64 v[196:197], v[76:77], s[12:13], v[78:79]
	v_fma_f64 v[54:55], v[56:57], s[2:3], v[182:183]
	;; [unrolled: 1-line block ×3, first 2 shown]
	v_add_f64_e64 v[200:201], v[26:27], -v[38:39]
	v_add_f64_e64 v[202:203], v[10:11], -v[6:7]
	v_add_f64_e32 v[34:35], v[38:39], v[34:35]
	v_add_f64_e32 v[36:37], v[40:41], v[36:37]
	v_fma_f64 v[108:109], v[98:99], s[12:13], v[155:156]
	v_add_f64_e64 v[155:156], v[40:41], -v[8:9]
	v_fma_f64 v[157:158], v[153:154], s[2:3], v[171:172]
	v_fma_f64 v[92:93], v[153:154], s[6:7], v[92:93]
	;; [unrolled: 1-line block ×3, first 2 shown]
	v_add_f64_e64 v[171:172], v[28:29], -v[12:13]
	v_fma_f64 v[94:95], v[98:99], s[12:13], v[94:95]
	v_fma_f64 v[84:85], v[84:85], s[2:3], v[198:199]
	;; [unrolled: 1-line block ×5, first 2 shown]
	v_add_f64_e32 v[151:152], v[2:3], v[18:19]
	v_add_f64_e64 v[186:187], v[40:41], -v[28:29]
	v_fma_f64 v[78:79], v[169:170], s[10:11], v[120:121]
	v_fma_f64 v[120:121], v[169:170], s[0:1], v[120:121]
	;; [unrolled: 1-line block ×5, first 2 shown]
	v_add_f64_e64 v[188:189], v[28:29], -v[40:41]
	v_add_f64_e64 v[192:193], v[12:13], -v[8:9]
	v_fma_f64 v[96:97], v[180:181], s[10:11], v[173:174]
	v_fma_f64 v[173:174], v[80:81], s[12:13], v[194:195]
	;; [unrolled: 1-line block ×3, first 2 shown]
	v_mul_f64_e32 v[72:73], s[6:7], v[167:168]
	v_mul_f64_e32 v[80:81], s[10:11], v[178:179]
	v_add_f64_e64 v[184:185], v[38:39], -v[26:27]
	v_add_f64_e64 v[194:195], v[6:7], -v[10:11]
	v_fma_f64 v[54:55], v[50:51], s[12:13], v[54:55]
	v_add_f64_e32 v[26:27], v[26:27], v[34:35]
	v_add_f64_e64 v[34:35], v[22:23], -v[18:19]
	v_add_f64_e32 v[28:29], v[28:29], v[36:37]
	v_fma_f64 v[206:207], v[155:156], s[10:11], v[100:101]
	v_fma_f64 v[157:158], v[52:53], s[12:13], v[157:158]
	;; [unrolled: 1-line block ×4, first 2 shown]
	v_fma_f64 v[153:154], v[159:160], -0.5, v[30:31]
	v_add_f64_e32 v[159:160], v[4:5], v[20:21]
	v_fma_f64 v[208:209], v[171:172], s[0:1], v[110:111]
	v_fma_f64 v[38:39], v[86:87], s[12:13], v[84:85]
	;; [unrolled: 1-line block ×4, first 2 shown]
	v_fma_f64 v[86:87], v[151:152], -0.5, v[30:31]
	v_fma_f64 v[88:89], v[175:176], -0.5, v[32:33]
	v_fma_f64 v[98:99], v[155:156], s[0:1], v[100:101]
	v_add_f64_e32 v[100:101], v[190:191], v[186:187]
	v_add_f64_e32 v[30:31], v[18:19], v[30:31]
	v_fma_f64 v[110:111], v[171:172], s[10:11], v[110:111]
	v_fma_f64 v[78:79], v[180:181], s[2:3], v[78:79]
	;; [unrolled: 1-line block ×3, first 2 shown]
	v_add_f64_e64 v[180:181], v[18:19], -v[2:3]
	v_fma_f64 v[76:77], v[169:170], s[2:3], v[76:77]
	v_add_f64_e64 v[84:85], v[24:25], -v[16:17]
	v_add_f64_e32 v[151:152], v[192:193], v[188:189]
	v_fma_f64 v[96:97], v[169:170], s[6:7], v[96:97]
	v_add_f64_e32 v[175:176], v[20:21], v[32:33]
	v_mul_f64_e32 v[169:170], s[10:11], v[104:105]
	v_fma_f64 v[72:73], v[165:166], s[14:15], v[72:73]
	v_mul_f64_e32 v[165:166], s[2:3], v[165:166]
	v_mul_f64_e32 v[186:187], s[0:1], v[149:150]
	;; [unrolled: 1-line block ×3, first 2 shown]
	v_fma_f64 v[80:81], v[149:150], s[12:13], v[80:81]
	v_add_f64_e32 v[149:150], v[194:195], v[184:185]
	v_add_f64_e64 v[184:185], v[22:23], -v[14:15]
	v_fma_f64 v[50:51], v[50:51], s[12:13], v[56:57]
	v_mul_f64_e32 v[56:57], s[6:7], v[106:107]
	v_add_f64_e64 v[192:193], v[18:19], -v[22:23]
	v_add_f64_e64 v[194:195], v[2:3], -v[14:15]
	v_add_f64_e32 v[18:19], v[64:65], v[62:63]
	v_fma_f64 v[188:189], v[171:172], s[6:7], v[206:207]
	v_fma_f64 v[32:33], v[159:160], -0.5, v[32:33]
	v_add_f64_e32 v[159:160], v[202:203], v[200:201]
	v_fma_f64 v[190:191], v[155:156], s[6:7], v[208:209]
	v_fma_f64 v[200:201], v[204:205], s[10:11], v[153:154]
	;; [unrolled: 1-line block ×3, first 2 shown]
	v_add_f64_e64 v[202:203], v[14:15], -v[2:3]
	v_fma_f64 v[36:37], v[171:172], s[2:3], v[98:99]
	v_add_f64_e64 v[171:172], v[4:5], -v[16:17]
	v_add_f64_e32 v[22:23], v[22:23], v[30:31]
	v_fma_f64 v[98:99], v[155:156], s[2:3], v[110:111]
	v_add_f64_e64 v[110:111], v[20:21], -v[24:25]
	v_fma_f64 v[155:156], v[180:181], s[0:1], v[88:89]
	v_fma_f64 v[76:77], v[100:101], s[12:13], v[76:77]
	;; [unrolled: 1-line block ×8, first 2 shown]
	v_add_f64_e32 v[30:31], v[24:25], v[175:176]
	v_mul_f64_e32 v[100:101], s[18:19], v[106:107]
	v_fma_f64 v[106:107], v[102:103], s[16:17], v[169:170]
	v_fma_f64 v[151:152], v[167:168], s[14:15], v[165:166]
	v_fma_f64 v[167:168], v[178:179], s[12:13], v[186:187]
	v_fma_f64 v[102:103], v[102:103], s[0:1], v[104:105]
	v_add_f64_e64 v[104:105], v[24:25], -v[20:21]
	v_add_f64_e64 v[175:176], v[16:17], -v[4:5]
	v_fma_f64 v[56:57], v[112:113], s[18:19], v[56:57]
	v_mul_f64_e32 v[165:166], s[6:7], v[54:55]
	v_mul_f64_e32 v[169:170], s[10:11], v[157:158]
	v_add_f64_e64 v[24:25], v[62:63], -v[64:65]
	v_fma_f64 v[186:187], v[149:150], s[12:13], v[188:189]
	v_add_f64_e32 v[20:21], v[68:69], v[72:73]
	v_fma_f64 v[178:179], v[184:185], s[10:11], v[32:33]
	v_fma_f64 v[32:33], v[184:185], s[0:1], v[32:33]
	;; [unrolled: 1-line block ×3, first 2 shown]
	v_add_f64_e32 v[190:191], v[194:195], v[192:193]
	v_mul_f64_e32 v[192:193], s[10:11], v[52:53]
	v_fma_f64 v[194:195], v[84:85], s[6:7], v[200:201]
	v_fma_f64 v[84:85], v[84:85], s[2:3], v[153:154]
	v_mul_f64_e32 v[153:154], s[2:3], v[92:93]
	v_add_f64_e32 v[34:35], v[202:203], v[34:35]
	v_mul_f64_e32 v[202:203], s[6:7], v[50:51]
	v_mul_f64_e32 v[52:53], s[16:17], v[52:53]
	v_add_f64_e32 v[62:63], v[14:15], v[22:23]
	v_add_f64_e32 v[110:111], v[171:172], v[110:111]
	v_fma_f64 v[64:65], v[184:185], s[2:3], v[155:156]
	v_add_f64_e32 v[155:156], v[10:11], v[26:27]
	v_mul_f64_e32 v[171:172], s[6:7], v[76:77]
	v_fma_f64 v[200:201], v[204:205], s[6:7], v[206:207]
	v_fma_f64 v[86:87], v[204:205], s[2:3], v[86:87]
	;; [unrolled: 1-line block ×4, first 2 shown]
	v_mul_f64_e32 v[184:185], s[10:11], v[78:79]
	v_mul_f64_e32 v[159:160], s[10:11], v[120:121]
	v_mul_f64_e32 v[204:205], s[0:1], v[40:41]
	v_fma_f64 v[36:37], v[149:150], s[12:13], v[36:37]
	v_mul_f64_e32 v[149:150], s[6:7], v[96:97]
	v_mul_f64_e32 v[50:51], s[18:19], v[50:51]
	v_add_f64_e32 v[30:31], v[16:17], v[30:31]
	v_add_f64_e32 v[206:207], v[12:13], v[28:29]
	v_mul_f64_e32 v[96:97], s[18:19], v[96:97]
	v_add_f64_e32 v[10:11], v[82:83], v[80:81]
	v_add_f64_e64 v[14:15], v[68:69], -v[72:73]
	v_add_f64_e64 v[16:17], v[82:83], -v[80:81]
	v_add_f64_e32 v[72:73], v[175:176], v[104:105]
	v_mul_f64_e32 v[82:83], s[2:3], v[186:187]
	v_fma_f64 v[100:101], v[112:113], s[2:3], v[100:101]
	v_mul_f64_e32 v[112:113], s[16:17], v[120:121]
	v_add_f64_e32 v[22:23], v[66:67], v[56:57]
	v_add_f64_e64 v[28:29], v[66:67], -v[56:57]
	v_fma_f64 v[80:81], v[180:181], s[2:3], v[178:179]
	v_fma_f64 v[32:33], v[180:181], s[6:7], v[32:33]
	v_mul_f64_e32 v[104:105], s[0:1], v[188:189]
	v_fma_f64 v[56:57], v[92:93], s[14:15], v[165:166]
	v_fma_f64 v[40:41], v[40:41], s[12:13], v[169:170]
	;; [unrolled: 1-line block ×3, first 2 shown]
	v_add_f64_e32 v[12:13], v[116:117], v[106:107]
	v_add_f64_e64 v[26:27], v[116:117], -v[106:107]
	v_fma_f64 v[106:107], v[54:55], s[14:15], v[153:154]
	v_fma_f64 v[54:55], v[38:39], s[18:19], v[202:203]
	;; [unrolled: 1-line block ×4, first 2 shown]
	v_add_f64_e32 v[175:176], v[2:3], v[62:63]
	v_add_f64_e32 v[52:53], v[161:162], v[151:152]
	;; [unrolled: 1-line block ×3, first 2 shown]
	v_fma_f64 v[171:172], v[186:187], s[14:15], v[171:172]
	v_fma_f64 v[165:166], v[34:35], s[12:13], v[200:201]
	v_fma_f64 v[169:170], v[34:35], s[12:13], v[86:87]
	v_add_f64_e64 v[62:63], v[161:162], -v[151:152]
	v_fma_f64 v[186:187], v[110:111], s[12:13], v[88:89]
	v_fma_f64 v[180:181], v[188:189], s[12:13], v[184:185]
	v_fma_f64 v[159:160], v[98:99], s[16:17], v[159:160]
	v_fma_f64 v[116:117], v[157:158], s[12:13], v[204:205]
	v_fma_f64 v[157:158], v[190:191], s[12:13], v[84:85]
	v_fma_f64 v[184:185], v[110:111], s[12:13], v[64:65]
	v_fma_f64 v[110:111], v[36:37], s[18:19], v[149:150]
	v_fma_f64 v[153:154], v[38:39], s[2:3], v[50:51]
	v_add_f64_e32 v[178:179], v[4:5], v[30:31]
	v_add_f64_e32 v[149:150], v[8:9], v[206:207]
	v_fma_f64 v[190:191], v[36:37], s[2:3], v[96:97]
	v_add_f64_e64 v[64:65], v[163:164], -v[167:168]
	v_add_f64_e32 v[66:67], v[163:164], v[167:168]
	v_add_f64_e32 v[2:3], v[44:45], v[48:49]
	v_fma_f64 v[161:162], v[76:77], s[14:15], v[82:83]
	v_add_f64_e32 v[50:51], v[60:61], v[58:59]
	v_fma_f64 v[188:189], v[98:99], s[0:1], v[112:113]
	v_add_f64_e32 v[68:69], v[118:119], v[102:103]
	v_add_f64_e64 v[60:61], v[58:59], -v[60:61]
	v_fma_f64 v[151:152], v[72:73], s[12:13], v[80:81]
	v_fma_f64 v[167:168], v[72:73], s[12:13], v[32:33]
	;; [unrolled: 1-line block ×3, first 2 shown]
	v_add_f64_e32 v[4:5], v[108:109], v[56:57]
	v_add_f64_e32 v[6:7], v[90:91], v[40:41]
	;; [unrolled: 1-line block ×3, first 2 shown]
	v_add_f64_e64 v[32:33], v[48:49], -v[44:45]
	v_add_f64_e64 v[34:35], v[108:109], -v[56:57]
	;; [unrolled: 1-line block ×3, first 2 shown]
	v_add_f64_e32 v[30:31], v[94:95], v[54:55]
	v_add_f64_e64 v[38:39], v[74:75], -v[92:93]
	v_add_f64_e64 v[40:41], v[94:95], -v[54:55]
	v_add_f64_e32 v[58:59], v[114:115], v[100:101]
	v_add_f64_e64 v[84:85], v[114:115], -v[100:101]
	v_add_f64_e32 v[54:55], v[155:156], v[175:176]
	v_add_f64_e32 v[56:57], v[70:71], v[171:172]
	v_add_f64_e64 v[80:81], v[175:176], -v[155:156]
	v_add_f64_e64 v[70:71], v[70:71], -v[171:172]
	v_add_f64_e32 v[86:87], v[42:43], v[46:47]
	v_add_f64_e64 v[100:101], v[46:47], -v[42:43]
	v_add_f64_e32 v[74:75], v[165:166], v[180:181]
	v_add_f64_e32 v[76:77], v[169:170], v[159:160]
	v_add_f64_e64 v[72:73], v[165:166], -v[180:181]
	v_add_f64_e64 v[94:95], v[169:170], -v[159:160]
	v_mul_u32_u24_e32 v42, 10, v0
	v_add_f64_e32 v[78:79], v[157:158], v[110:111]
	v_add_f64_e64 v[96:97], v[157:158], -v[110:111]
	v_add_f64_e32 v[88:89], v[196:197], v[106:107]
	v_add_f64_e32 v[90:91], v[173:174], v[116:117]
	;; [unrolled: 1-line block ×3, first 2 shown]
	v_add_f64_e64 v[82:83], v[118:119], -v[102:103]
	v_add_f64_e32 v[98:99], v[198:199], v[153:154]
	v_add_f64_e64 v[46:47], v[196:197], -v[106:107]
	v_add_f64_e64 v[48:49], v[173:174], -v[116:117]
	v_lshl_add_u32 v137, v42, 3, 0
	v_mul_i32_i24_e32 v42, 10, v122
	v_add_f64_e64 v[102:103], v[182:183], -v[120:121]
	v_add_f64_e64 v[104:105], v[198:199], -v[153:154]
	v_add_f64_e32 v[114:115], v[186:187], v[190:191]
	v_add_f64_e64 v[116:117], v[178:179], -v[149:150]
	v_add_f64_e32 v[106:107], v[149:150], v[178:179]
	v_add_f64_e32 v[108:109], v[184:185], v[161:162]
	v_add_f64_e64 v[118:119], v[184:185], -v[161:162]
	v_add_f64_e64 v[120:121], v[151:152], -v[163:164]
	v_add_f64_e32 v[110:111], v[151:152], v[163:164]
	v_add_f64_e32 v[112:113], v[167:168], v[188:189]
	v_add_f64_e64 v[149:150], v[167:168], -v[188:189]
	v_add_f64_e64 v[151:152], v[186:187], -v[190:191]
	ds_store_b128 v137, v[18:21]
	ds_store_b128 v137, v[10:13] offset:16
	v_mul_i32_i24_e32 v10, 10, v124
	v_lshl_add_u32 v178, v42, 3, 0
	ds_store_b128 v137, v[22:25] offset:32
	ds_store_b128 v137, v[14:17] offset:48
	;; [unrolled: 1-line block ×3, first 2 shown]
	v_mad_i32_i24 v184, 0xffffffb8, v0, v137
	v_lshl_add_u32 v179, v143, 3, 0
	v_lshl_add_u32 v180, v10, 3, 0
	ds_store_b128 v178, v[2:5]
	ds_store_b128 v178, v[6:9] offset:16
	ds_store_b128 v178, v[30:33] offset:32
	;; [unrolled: 1-line block ×4, first 2 shown]
	ds_store_b128 v180, v[54:57]
	ds_store_b128 v180, v[74:77] offset:16
	ds_store_b128 v180, v[78:81] offset:32
	;; [unrolled: 1-line block ×4, first 2 shown]
	v_mul_lo_u16 v94, 0x67, v0
	v_lshl_add_u32 v181, v134, 3, 0
	v_lshl_add_u32 v182, v147, 3, 0
	v_mad_i32_i24 v129, 0xffffffb8, v122, v178
	v_lshl_add_u32 v183, v145, 3, 0
	v_lshrrev_b16 v194, 10, v94
	v_mad_i32_i24 v132, 0xffffffb8, v124, v180
	global_wb scope:SCOPE_SE
	s_wait_dscnt 0x0
	s_barrier_signal -1
	s_barrier_wait -1
	v_mul_lo_u16 v95, v194, 10
	global_inv scope:SCOPE_SE
	ds_load_2addr_stride64_b64 v[2:5], v184 offset1:12
	ds_load_2addr_stride64_b64 v[10:13], v184 offset0:28 offset1:30
	ds_load_2addr_stride64_b64 v[54:57], v184 offset0:40 offset1:42
	;; [unrolled: 1-line block ×6, first 2 shown]
	ds_load_b64 v[72:73], v129
	ds_load_b64 v[70:71], v132
	ds_load_2addr_stride64_b64 v[18:21], v184 offset0:14 offset1:16
	ds_load_2addr_stride64_b64 v[42:45], v184 offset0:24 offset1:26
	;; [unrolled: 1-line block ×5, first 2 shown]
	ds_load_b64 v[80:81], v179
	ds_load_b64 v[78:79], v181
	;; [unrolled: 1-line block ×4, first 2 shown]
	global_wb scope:SCOPE_SE
	s_wait_dscnt 0x0
	s_barrier_signal -1
	s_barrier_wait -1
	global_inv scope:SCOPE_SE
	ds_store_b128 v137, v[50:53]
	ds_store_b128 v137, v[66:69] offset:16
	v_sub_nc_u16 v50, v0, v95
	ds_store_b128 v137, v[58:61] offset:32
	ds_store_b128 v137, v[62:65] offset:48
	;; [unrolled: 1-line block ×3, first 2 shown]
	ds_store_b128 v178, v[86:89]
	ds_store_b128 v178, v[90:93] offset:16
	ds_store_b128 v178, v[98:101] offset:32
	;; [unrolled: 1-line block ×4, first 2 shown]
	ds_store_b128 v180, v[106:109]
	ds_store_b128 v180, v[110:113] offset:16
	ds_store_b128 v180, v[114:117] offset:32
	;; [unrolled: 1-line block ×4, first 2 shown]
	v_and_b32_e32 v189, 0xff, v50
	v_mul_lo_u16 v94, 0xcd, v135
	global_wb scope:SCOPE_SE
	s_wait_dscnt 0x0
	s_barrier_signal -1
	s_barrier_wait -1
	v_mul_u32_u24_e32 v47, 5, v189
	global_inv scope:SCOPE_SE
	v_lshrrev_b16 v195, 11, v94
	v_and_b32_e32 v137, 0xffff, v124
	v_and_b32_e32 v185, 0xffff, v145
	v_lshlrev_b32_e32 v118, 4, v47
	v_mul_u32_u24_e32 v47, 0xcccd, v139
	v_mul_lo_u16 v51, v195, 10
	s_mov_b32 s2, 0xe8584caa
	s_mov_b32 s3, 0xbfebb67a
	global_load_b128 v[58:61], v118, s[4:5] offset:48
	v_lshrrev_b32_e32 v186, 19, v47
	v_sub_nc_u16 v46, v122, v51
	s_mov_b32 s1, 0x3febb67a
	s_wait_alu 0xfffe
	s_mov_b32 s0, s2
	v_lshlrev_b32_e32 v189, 3, v189
	v_mul_lo_u16 v47, v186, 10
	v_and_b32_e32 v188, 0xff, v46
	s_delay_alu instid0(VALU_DEP_2) | instskip(NEXT) | instid1(VALU_DEP_2)
	v_sub_nc_u16 v47, v147, v47
	v_mul_u32_u24_e32 v46, 5, v188
	v_lshlrev_b32_e32 v188, 3, v188
	s_delay_alu instid0(VALU_DEP_3) | instskip(NEXT) | instid1(VALU_DEP_3)
	v_and_b32_e32 v187, 0xffff, v47
	v_lshlrev_b32_e32 v119, 4, v46
	v_mul_u32_u24_e32 v46, 0xcccd, v137
	s_delay_alu instid0(VALU_DEP_3)
	v_mul_u32_u24_e32 v47, 5, v187
	s_clause 0x1
	global_load_b128 v[62:65], v119, s[4:5] offset:48
	global_load_b128 v[66:69], v119, s[4:5] offset:32
	v_lshrrev_b32_e32 v191, 19, v46
	v_lshlrev_b32_e32 v114, 4, v47
	s_delay_alu instid0(VALU_DEP_2) | instskip(SKIP_1) | instid1(VALU_DEP_2)
	v_mul_lo_u16 v46, v191, 10
	v_mul_u32_u24_e32 v191, 0x1e0, v191
	v_sub_nc_u16 v46, v124, v46
	s_delay_alu instid0(VALU_DEP_1) | instskip(NEXT) | instid1(VALU_DEP_1)
	v_and_b32_e32 v190, 0xffff, v46
	v_mul_u32_u24_e32 v46, 5, v190
	v_lshlrev_b32_e32 v190, 3, v190
	s_delay_alu instid0(VALU_DEP_2)
	v_lshlrev_b32_e32 v46, 4, v46
	s_clause 0x7
	global_load_b128 v[84:87], v46, s[4:5] offset:32
	global_load_b128 v[90:93], v119, s[4:5] offset:64
	;; [unrolled: 1-line block ×3, first 2 shown]
	global_load_b128 v[149:152], v46, s[4:5]
	global_load_b128 v[153:156], v114, s[4:5]
	global_load_b128 v[157:160], v46, s[4:5] offset:16
	global_load_b128 v[161:164], v114, s[4:5] offset:16
	;; [unrolled: 1-line block ×3, first 2 shown]
	v_mul_u32_u24_e32 v46, 0xcccd, v185
	s_clause 0x1
	global_load_b128 v[169:172], v114, s[4:5] offset:48
	global_load_b128 v[173:176], v119, s[4:5] offset:16
	ds_load_2addr_stride64_b64 v[98:101], v184 offset0:40 offset1:42
	v_lshrrev_b32_e32 v192, 19, v46
	s_delay_alu instid0(VALU_DEP_1) | instskip(NEXT) | instid1(VALU_DEP_1)
	v_mul_lo_u16 v46, v192, 10
	v_sub_nc_u16 v46, v145, v46
	s_delay_alu instid0(VALU_DEP_1) | instskip(NEXT) | instid1(VALU_DEP_1)
	v_and_b32_e32 v193, 0xffff, v46
	v_mul_u32_u24_e32 v46, 5, v193
	s_delay_alu instid0(VALU_DEP_1)
	v_lshlrev_b32_e32 v212, 4, v46
	s_clause 0x4
	global_load_b128 v[196:199], v212, s[4:5]
	global_load_b128 v[200:203], v114, s[4:5] offset:32
	global_load_b128 v[204:207], v212, s[4:5] offset:32
	;; [unrolled: 1-line block ×4, first 2 shown]
	ds_load_2addr_stride64_b64 v[108:111], v184 offset0:32 offset1:34
	ds_load_2addr_stride64_b64 v[208:211], v184 offset0:52 offset1:54
	s_wait_loadcnt_dscnt 0x1102
	v_mul_f64_e32 v[82:83], v[98:99], v[60:61]
	v_mul_f64_e32 v[60:61], v[54:55], v[60:61]
	s_wait_loadcnt 0x10
	v_mul_f64_e32 v[94:95], v[100:101], v[64:65]
	v_mul_f64_e32 v[64:65], v[56:57], v[64:65]
	s_wait_loadcnt_dscnt 0xf01
	v_mul_f64_e32 v[102:103], v[108:109], v[68:69]
	v_mul_f64_e32 v[68:69], v[26:27], v[68:69]
	v_fma_f64 v[96:97], v[54:55], v[58:59], v[82:83]
	v_fma_f64 v[88:89], v[98:99], v[58:59], -v[60:61]
	global_load_b128 v[58:61], v118, s[4:5]
	s_wait_loadcnt 0xf
	v_mul_f64_e32 v[112:113], v[110:111], v[86:87]
	v_mul_f64_e32 v[86:87], v[28:29], v[86:87]
	v_fma_f64 v[98:99], v[56:57], v[62:63], v[94:95]
	global_load_b128 v[54:57], v114, s[4:5] offset:64
	v_fma_f64 v[82:83], v[100:101], v[62:63], -v[64:65]
	s_wait_loadcnt_dscnt 0xf00
	v_mul_f64_e32 v[100:101], v[208:209], v[92:93]
	v_mul_f64_e32 v[114:115], v[22:23], v[92:93]
	v_fma_f64 v[120:121], v[26:27], v[66:67], v[102:103]
	s_wait_loadcnt 0xe
	v_mul_f64_e32 v[26:27], v[210:211], v[106:107]
	global_load_b128 v[62:65], v118, s[4:5] offset:16
	ds_load_2addr_stride64_b64 v[92:95], v184 offset0:14 offset1:16
	v_fma_f64 v[102:103], v[108:109], v[66:67], -v[68:69]
	global_load_b128 v[66:69], v212, s[4:5] offset:64
	v_fma_f64 v[116:117], v[28:29], v[84:85], v[112:113]
	v_mul_f64_e32 v[28:29], v[24:25], v[106:107]
	v_fma_f64 v[108:109], v[110:111], v[84:85], -v[86:87]
	s_wait_loadcnt_dscnt 0xe00
	v_mul_f64_e32 v[106:107], v[94:95], v[155:156]
	v_fma_f64 v[112:113], v[22:23], v[90:91], v[100:101]
	v_fma_f64 v[84:85], v[208:209], v[90:91], -v[114:115]
	v_mul_f64_e32 v[90:91], v[92:93], v[151:152]
	v_fma_f64 v[110:111], v[24:25], v[104:105], v[26:27]
	global_load_b128 v[22:25], v119, s[4:5]
	v_mul_f64_e32 v[100:101], v[18:19], v[151:152]
	v_fma_f64 v[86:87], v[210:211], v[104:105], -v[28:29]
	global_load_b128 v[26:29], v212, s[4:5] offset:16
	v_mul_f64_e32 v[104:105], v[20:21], v[155:156]
	v_fma_f64 v[118:119], v[20:21], v[153:154], v[106:107]
	ds_load_2addr_stride64_b64 v[208:211], v184 offset0:24 offset1:26
	v_fma_f64 v[114:115], v[18:19], v[149:150], v[90:91]
	global_load_b128 v[18:21], v212, s[4:5] offset:48
	v_fma_f64 v[151:152], v[92:93], v[149:150], -v[100:101]
	s_wait_loadcnt_dscnt 0x1000
	v_mul_f64_e32 v[92:93], v[208:209], v[159:160]
	s_wait_loadcnt 0xf
	v_mul_f64_e32 v[100:101], v[210:211], v[163:164]
	v_fma_f64 v[90:91], v[94:95], v[153:154], -v[104:105]
	v_mul_f64_e32 v[94:95], v[42:43], v[159:160]
	v_mul_f64_e32 v[104:105], v[44:45], v[163:164]
	s_wait_loadcnt 0xd
	v_mul_f64_e32 v[153:154], v[36:37], v[171:172]
	v_fma_f64 v[149:150], v[42:43], v[157:158], v[92:93]
	v_fma_f64 v[100:101], v[44:45], v[161:162], v[100:101]
	v_mul_f64_e32 v[44:45], v[34:35], v[167:168]
	v_fma_f64 v[106:107], v[208:209], v[157:158], -v[94:95]
	ds_load_2addr_stride64_b64 v[157:160], v184 offset0:44 offset1:46
	v_fma_f64 v[92:93], v[210:211], v[161:162], -v[104:105]
	ds_load_2addr_stride64_b64 v[161:164], v184 offset0:18 offset1:22
	ds_load_2addr_stride64_b64 v[208:211], v184 offset0:36 offset1:38
	s_wait_dscnt 0x2
	v_mul_f64_e32 v[42:43], v[157:158], v[167:168]
	v_mul_f64_e32 v[94:95], v[159:160], v[171:172]
	s_wait_loadcnt_dscnt 0xc01
	v_mul_f64_e32 v[167:168], v[163:164], v[175:176]
	s_wait_loadcnt_dscnt 0xa00
	v_mul_f64_e32 v[171:172], v[208:209], v[202:203]
	s_delay_alu instid0(VALU_DEP_4)
	v_fma_f64 v[155:156], v[34:35], v[165:166], v[42:43]
	v_fma_f64 v[42:43], v[157:158], v[165:166], -v[44:45]
	v_mul_f64_e32 v[165:166], v[161:162], v[198:199]
	v_mul_f64_e32 v[34:35], v[32:33], v[175:176]
	v_fma_f64 v[104:105], v[36:37], v[169:170], v[94:95]
	v_mul_f64_e32 v[94:95], v[30:31], v[198:199]
	v_fma_f64 v[44:45], v[159:160], v[169:170], -v[153:154]
	v_mul_f64_e32 v[175:176], v[38:39], v[202:203]
	v_fma_f64 v[157:158], v[32:33], v[173:174], v[167:168]
	s_wait_loadcnt 0x7
	v_mul_f64_e32 v[167:168], v[8:9], v[52:53]
	v_mul_f64_e32 v[198:199], v[40:41], v[206:207]
	v_fma_f64 v[159:160], v[30:31], v[196:197], v[165:166]
	v_mul_f64_e32 v[165:166], v[12:13], v[48:49]
	v_fma_f64 v[153:154], v[163:164], v[173:174], -v[34:35]
	ds_load_2addr_stride64_b64 v[34:37], v184 offset0:28 offset1:30
	v_mul_f64_e32 v[173:174], v[210:211], v[206:207]
	ds_load_2addr_stride64_b64 v[30:33], v184 offset0:48 offset1:50
	ds_load_b64 v[163:164], v179
	v_fma_f64 v[94:95], v[161:162], v[196:197], -v[94:95]
	v_fma_f64 v[161:162], v[38:39], v[200:201], v[171:172]
	v_fma_f64 v[38:39], v[210:211], v[204:205], -v[198:199]
	v_add3_u32 v210, 0, v191, v190
	v_add_f64_e64 v[190:191], v[116:117], -v[110:111]
	v_add_f64_e64 v[206:207], v[100:101], -v[104:105]
	s_wait_dscnt 0x2
	v_mul_f64_e32 v[169:170], v[36:37], v[48:49]
	v_fma_f64 v[48:49], v[208:209], v[200:201], -v[175:176]
	s_wait_dscnt 0x1
	v_mul_f64_e32 v[171:172], v[32:33], v[52:53]
	v_fma_f64 v[32:33], v[32:33], v[50:51], -v[167:168]
	v_fma_f64 v[36:37], v[36:37], v[46:47], -v[165:166]
	v_fma_f64 v[40:41], v[40:41], v[204:205], v[173:174]
	ds_load_b64 v[52:53], v181
	ds_load_b64 v[173:174], v182
	;; [unrolled: 1-line block ×3, first 2 shown]
	ds_load_2addr_stride64_b64 v[196:199], v184 offset0:56 offset1:58
	s_wait_loadcnt_dscnt 0x604
	v_mul_f64_e32 v[200:201], v[163:164], v[60:61]
	v_mul_f64_e32 v[60:61], v[80:81], v[60:61]
	v_fma_f64 v[46:47], v[12:13], v[46:47], v[169:170]
	v_and_b32_e32 v169, 0xffff, v195
	v_fma_f64 v[50:51], v[8:9], v[50:51], v[171:172]
	v_add_f64_e32 v[171:172], v[120:121], v[112:113]
	s_wait_loadcnt_dscnt 0x500
	v_mul_f64_e32 v[12:13], v[196:197], v[56:57]
	v_mul_f64_e32 v[8:9], v[14:15], v[56:57]
	s_wait_loadcnt 0x4
	v_mul_f64_e32 v[165:166], v[52:53], v[64:65]
	v_mul_f64_e32 v[64:65], v[78:79], v[64:65]
	v_fma_f64 v[80:81], v[80:81], v[58:59], v[200:201]
	v_fma_f64 v[60:61], v[163:164], v[58:59], -v[60:61]
	v_add_f64_e32 v[163:164], v[36:37], v[32:33]
	ds_load_2addr_stride64_b64 v[56:59], v184 offset1:12
	v_fma_f64 v[14:15], v[14:15], v[54:55], v[12:13]
	v_fma_f64 v[8:9], v[196:197], v[54:55], -v[8:9]
	s_wait_loadcnt 0x3
	v_mul_f64_e32 v[12:13], v[198:199], v[68:69]
	v_mul_f64_e32 v[54:55], v[16:17], v[68:69]
	v_fma_f64 v[68:69], v[78:79], v[62:63], v[165:166]
	s_wait_loadcnt_dscnt 0x200
	v_mul_f64_e32 v[78:79], v[58:59], v[24:25]
	v_fma_f64 v[52:53], v[52:53], v[62:63], -v[64:65]
	v_add_f64_e32 v[62:63], v[46:47], v[50:51]
	v_add_f64_e64 v[64:65], v[46:47], -v[50:51]
	v_mul_f64_e32 v[24:25], v[4:5], v[24:25]
	v_fma_f64 v[163:164], v[163:164], -0.5, v[60:61]
	s_wait_loadcnt 0x1
	v_mul_f64_e32 v[165:166], v[34:35], v[28:29]
	v_mul_f64_e32 v[28:29], v[10:11], v[28:29]
	v_add_f64_e64 v[200:201], v[161:162], -v[14:15]
	v_fma_f64 v[16:17], v[16:17], v[66:67], v[12:13]
	v_fma_f64 v[12:13], v[198:199], v[66:67], -v[54:55]
	v_mul_u32_u24_e32 v199, 0x1e0, v169
	s_wait_loadcnt 0x0
	v_mul_f64_e32 v[54:55], v[30:31], v[20:21]
	v_add_f64_e32 v[66:67], v[68:69], v[96:97]
	v_fma_f64 v[4:5], v[4:5], v[22:23], v[78:79]
	v_add_f64_e64 v[78:79], v[36:37], -v[32:33]
	v_fma_f64 v[62:63], v[62:63], -0.5, v[80:81]
	v_mul_f64_e32 v[20:21], v[6:7], v[20:21]
	v_fma_f64 v[22:23], v[58:59], v[22:23], -v[24:25]
	v_add_f64_e32 v[58:59], v[48:49], v[8:9]
	v_add_f64_e32 v[36:37], v[60:61], v[36:37]
	;; [unrolled: 1-line block ×3, first 2 shown]
	v_add3_u32 v209, 0, v199, v188
	s_wait_alu 0xfffe
	v_fma_f64 v[167:168], v[64:65], s[0:1], v[163:164]
	v_fma_f64 v[64:65], v[64:65], s[2:3], v[163:164]
	;; [unrolled: 1-line block ×3, first 2 shown]
	v_fma_f64 v[24:25], v[34:35], v[26:27], -v[28:29]
	v_add_f64_e32 v[26:27], v[80:81], v[46:47]
	v_add_f64_e32 v[34:35], v[102:103], v[84:85]
	v_and_b32_e32 v165, 0xffff, v194
	v_add_f64_e32 v[28:29], v[2:3], v[68:69]
	v_add_f64_e64 v[46:47], v[52:53], -v[88:89]
	v_add_f64_e32 v[194:195], v[157:158], v[98:99]
	v_add_f64_e64 v[202:203], v[40:41], -v[16:17]
	v_mul_u32_u24_e32 v198, 0x1e0, v165
	v_add_f64_e32 v[165:166], v[52:53], v[88:89]
	v_fma_f64 v[6:7], v[6:7], v[18:19], v[54:55]
	v_add_f64_e32 v[54:55], v[108:109], v[86:87]
	v_add_f64_e32 v[80:81], v[38:39], v[12:13]
	;; [unrolled: 1-line block ×3, first 2 shown]
	v_fma_f64 v[2:3], v[66:67], -0.5, v[2:3]
	v_fma_f64 v[66:67], v[78:79], s[2:3], v[62:63]
	v_fma_f64 v[18:19], v[30:31], v[18:19], -v[20:21]
	v_add_f64_e32 v[20:21], v[116:117], v[110:111]
	v_add_f64_e64 v[30:31], v[120:121], -v[112:113]
	v_add3_u32 v208, 0, v198, v189
	v_add_f64_e32 v[120:121], v[161:162], v[14:15]
	v_add_f64_e32 v[198:199], v[40:41], v[16:17]
	;; [unrolled: 1-line block ×4, first 2 shown]
	v_mul_f64_e32 v[196:197], s[2:3], v[167:168]
	v_add_f64_e32 v[188:189], v[72:73], v[157:158]
	v_add_f64_e32 v[52:53], v[56:57], v[52:53]
	;; [unrolled: 1-line block ×3, first 2 shown]
	v_fma_f64 v[58:59], v[58:59], -0.5, v[90:91]
	v_add_f64_e64 v[68:69], v[68:69], -v[96:97]
	v_fma_f64 v[4:5], v[171:172], -0.5, v[4:5]
	v_fma_f64 v[60:61], v[60:61], -0.5, v[70:71]
	v_add_f64_e64 v[157:158], v[157:158], -v[98:99]
	v_fma_f64 v[62:63], v[78:79], s[0:1], v[62:63]
	v_add_f64_e32 v[32:33], v[36:37], v[32:33]
	v_mul_f64_e32 v[167:168], 0.5, v[167:168]
	v_add_f64_e32 v[26:27], v[26:27], v[50:51]
	v_add_f64_e32 v[50:51], v[100:101], v[104:105]
	v_fma_f64 v[34:35], v[34:35], -0.5, v[22:23]
	v_add_f64_e32 v[28:29], v[28:29], v[96:97]
	v_add_f64_e32 v[22:23], v[22:23], v[102:103]
	v_add_f64_e64 v[102:103], v[102:103], -v[84:85]
	v_fma_f64 v[72:73], v[194:195], -0.5, v[72:73]
	v_fma_f64 v[56:57], v[165:166], -0.5, v[56:57]
	v_add_f64_e32 v[165:166], v[70:71], v[149:150]
	v_fma_f64 v[54:55], v[54:55], -0.5, v[151:152]
	v_add_f64_e32 v[96:97], v[10:11], v[6:7]
	;; [unrolled: 2-line block ×3, first 2 shown]
	v_fma_f64 v[169:170], v[46:47], s[2:3], v[2:3]
	v_add_f64_e64 v[70:71], v[153:154], -v[82:83]
	v_fma_f64 v[20:21], v[20:21], -0.5, v[114:115]
	v_add_f64_e32 v[114:115], v[76:77], v[100:101]
	v_add_f64_e32 v[151:152], v[151:152], v[108:109]
	v_add_f64_e64 v[108:109], v[108:109], -v[86:87]
	v_fma_f64 v[118:119], v[120:121], -0.5, v[118:119]
	v_add_f64_e32 v[120:121], v[106:107], v[42:43]
	v_fma_f64 v[159:160], v[198:199], -0.5, v[159:160]
	v_fma_f64 v[171:172], v[66:67], 0.5, v[196:197]
	v_add_f64_e32 v[110:111], v[116:117], v[110:111]
	v_add_f64_e64 v[116:117], v[38:39], -v[12:13]
	v_add_f64_e32 v[16:17], v[40:41], v[16:17]
	v_add_f64_e32 v[98:99], v[188:189], v[98:99]
	;; [unrolled: 1-line block ×3, first 2 shown]
	v_add_f64_e64 v[198:199], v[48:49], -v[8:9]
	v_add_f64_e64 v[149:150], v[149:150], -v[155:156]
	v_add_f64_e32 v[14:15], v[161:162], v[14:15]
	v_add_f64_e64 v[161:162], v[92:93], -v[44:45]
	v_add_f64_e64 v[163:164], v[24:25], -v[18:19]
	ds_load_b64 v[194:195], v129
	ds_load_b64 v[196:197], v132
	v_fma_f64 v[2:3], v[46:47], s[0:1], v[2:3]
	v_add_f64_e32 v[88:89], v[52:53], v[88:89]
	global_wb scope:SCOPE_SE
	s_wait_dscnt 0x0
	s_barrier_signal -1
	v_fma_f64 v[50:51], v[50:51], -0.5, v[76:77]
	v_fma_f64 v[76:77], v[30:31], s[0:1], v[34:35]
	v_fma_f64 v[30:31], v[30:31], s[2:3], v[34:35]
	v_add_f64_e32 v[34:35], v[28:29], v[26:27]
	v_fma_f64 v[46:47], v[102:103], s[2:3], v[4:5]
	v_fma_f64 v[4:5], v[102:103], s[0:1], v[4:5]
	v_mul_f64_e32 v[102:103], s[2:3], v[64:65]
	s_barrier_wait -1
	v_add_f64_e32 v[155:156], v[165:166], v[155:156]
	v_fma_f64 v[40:41], v[190:191], s[0:1], v[54:55]
	v_fma_f64 v[54:55], v[190:191], s[2:3], v[54:55]
	v_add_f64_e64 v[165:166], v[106:107], -v[42:43]
	v_fma_f64 v[190:191], v[200:201], s[0:1], v[58:59]
	v_fma_f64 v[58:59], v[200:201], s[2:3], v[58:59]
	;; [unrolled: 1-line block ×4, first 2 shown]
	v_fma_f64 v[96:97], v[96:97], -0.5, v[74:75]
	v_add_f64_e32 v[74:75], v[74:75], v[10:11]
	v_fma_f64 v[100:101], v[70:71], s[2:3], v[72:73]
	v_fma_f64 v[70:71], v[70:71], s[0:1], v[72:73]
	v_add_f64_e32 v[204:205], v[196:197], v[106:107]
	v_add_f64_e32 v[52:53], v[114:115], v[104:105]
	;; [unrolled: 1-line block ×3, first 2 shown]
	v_fma_f64 v[114:115], v[120:121], -0.5, v[196:197]
	v_fma_f64 v[78:79], v[108:109], s[2:3], v[20:21]
	v_fma_f64 v[120:121], v[116:117], s[2:3], v[159:160]
	;; [unrolled: 1-line block ×3, first 2 shown]
	v_fma_f64 v[36:37], v[188:189], -0.5, v[194:195]
	v_fma_f64 v[20:21], v[108:109], s[0:1], v[20:21]
	v_fma_f64 v[108:109], v[198:199], s[2:3], v[118:119]
	v_add_f64_e32 v[153:154], v[194:195], v[153:154]
	v_fma_f64 v[118:119], v[198:199], s[0:1], v[118:119]
	global_inv scope:SCOPE_SE
	v_add_f64_e64 v[26:27], v[28:29], -v[26:27]
	v_add_f64_e32 v[28:29], v[98:99], v[112:113]
	v_add_f64_e64 v[98:99], v[98:99], -v[112:113]
	v_add_f64_e64 v[169:170], v[169:170], -v[171:172]
	v_mul_f64_e32 v[64:65], -0.5, v[64:65]
	v_add_f64_e32 v[22:23], v[22:23], v[84:85]
	v_mul_f64_e32 v[72:73], s[2:3], v[76:77]
	v_mul_f64_e32 v[106:107], s[2:3], v[30:31]
	v_mul_f64_e32 v[76:77], 0.5, v[76:77]
	v_mul_f64_e32 v[30:31], -0.5, v[30:31]
	v_fma_f64 v[102:103], v[62:63], -0.5, v[102:103]
	v_add_f64_e32 v[112:113], v[155:156], v[110:111]
	v_mul_f64_e32 v[159:160], s[2:3], v[40:41]
	v_mul_f64_e32 v[188:189], s[2:3], v[54:55]
	v_fma_f64 v[104:105], v[165:166], s[2:3], v[60:61]
	v_fma_f64 v[60:61], v[165:166], s[0:1], v[60:61]
	;; [unrolled: 1-line block ×4, first 2 shown]
	v_mul_f64_e32 v[161:162], s[2:3], v[190:191]
	v_mul_f64_e32 v[194:195], s[2:3], v[58:59]
	;; [unrolled: 1-line block ×3, first 2 shown]
	v_add_f64_e32 v[74:75], v[74:75], v[6:7]
	v_add_f64_e64 v[110:111], v[155:156], -v[110:111]
	v_mul_f64_e32 v[40:41], 0.5, v[40:41]
	v_add_f64_e32 v[155:156], v[52:53], v[14:15]
	ds_store_2addr_b64 v208, v[34:35], v[202:203] offset1:10
	v_fma_f64 v[34:35], v[163:164], s[2:3], v[96:97]
	v_fma_f64 v[96:97], v[163:164], s[0:1], v[96:97]
	v_mul_f64_e32 v[163:164], s[2:3], v[80:81]
	v_add_f64_e64 v[14:15], v[52:53], -v[14:15]
	v_mul_f64_e32 v[54:55], -0.5, v[54:55]
	v_add_f64_e64 v[6:7], v[10:11], -v[6:7]
	v_add_f64_e32 v[10:11], v[94:95], v[38:39]
	v_fma_f64 v[62:63], v[62:63], s[0:1], v[64:65]
	v_add_f64_e32 v[64:65], v[153:154], v[82:83]
	v_fma_f64 v[72:73], v[46:47], 0.5, v[72:73]
	v_fma_f64 v[106:107], v[4:5], -0.5, v[106:107]
	v_fma_f64 v[4:5], v[4:5], s[0:1], v[30:31]
	v_add_f64_e32 v[30:31], v[204:205], v[42:43]
	v_add_f64_e32 v[171:172], v[2:3], v[102:103]
	v_add_f64_e64 v[2:3], v[2:3], -v[102:103]
	v_fma_f64 v[159:160], v[78:79], 0.5, v[159:160]
	v_fma_f64 v[188:189], v[20:21], -0.5, v[188:189]
	v_fma_f64 v[161:162], v[108:109], 0.5, v[161:162]
	v_fma_f64 v[194:195], v[118:119], -0.5, v[194:195]
	v_fma_f64 v[196:197], v[120:121], 0.5, v[196:197]
	v_add_f64_e32 v[52:53], v[74:75], v[16:17]
	v_add_f64_e64 v[16:17], v[74:75], -v[16:17]
	v_add_f64_e32 v[74:75], v[92:93], v[44:45]
	v_add_f64_e32 v[92:93], v[173:174], v[92:93]
	v_fma_f64 v[78:79], v[78:79], s[0:1], v[40:41]
	v_fma_f64 v[163:164], v[116:117], -0.5, v[163:164]
	v_fma_f64 v[20:21], v[20:21], s[0:1], v[54:55]
	v_add_f64_e32 v[10:11], v[10:11], v[12:13]
	v_add_f64_e32 v[94:95], v[64:65], v[22:23]
	;; [unrolled: 1-line block ×4, first 2 shown]
	v_add_f64_e64 v[72:73], v[100:101], -v[72:73]
	v_add_f64_e64 v[70:71], v[70:71], -v[106:107]
	v_mul_u32_u24_e32 v100, 0x1e0, v186
	v_lshlrev_b32_e32 v101, 3, v187
	v_mul_u32_u24_e32 v186, 0x1e0, v192
	v_lshlrev_b32_e32 v187, 3, v193
	v_add_f64_e32 v[106:107], v[104:105], v[159:160]
	v_add_f64_e64 v[104:105], v[104:105], -v[159:160]
	v_add_f64_e32 v[159:160], v[60:61], v[188:189]
	v_add_f64_e64 v[60:61], v[60:61], -v[188:189]
	v_add3_u32 v192, 0, v100, v101
	v_add3_u32 v186, 0, v186, v187
	v_add_f64_e32 v[188:189], v[165:166], v[161:162]
	v_add_f64_e64 v[161:162], v[165:166], -v[161:162]
	v_add_f64_e32 v[165:166], v[50:51], v[194:195]
	v_add_f64_e64 v[50:51], v[50:51], -v[194:195]
	;; [unrolled: 2-line block ×3, first 2 shown]
	v_fma_f64 v[74:75], v[74:75], -0.5, v[173:174]
	v_add_f64_e32 v[54:55], v[92:93], v[44:45]
	v_lshl_add_u32 v100, v141, 3, 0
	v_lshl_add_u32 v101, v128, 3, 0
	v_add_f64_e32 v[196:197], v[96:97], v[163:164]
	v_add_f64_e64 v[96:97], v[96:97], -v[163:164]
	v_add_f64_e32 v[163:164], v[24:25], v[18:19]
	ds_store_2addr_b64 v208, v[171:172], v[26:27] offset0:20 offset1:30
	ds_store_2addr_b64 v208, v[169:170], v[2:3] offset0:40 offset1:50
	ds_store_2addr_b64 v209, v[28:29], v[102:103] offset1:10
	ds_store_2addr_b64 v209, v[198:199], v[98:99] offset0:20 offset1:30
	ds_store_2addr_b64 v209, v[72:73], v[70:71] offset0:40 offset1:50
	ds_store_2addr_b64 v210, v[112:113], v[106:107] offset1:10
	;; [unrolled: 3-line block ×4, first 2 shown]
	ds_store_2addr_b64 v186, v[196:197], v[16:17] offset0:20 offset1:30
	v_add_f64_e32 v[2:3], v[90:91], v[48:49]
	v_mul_f64_e32 v[14:15], 0.5, v[190:191]
	v_add_f64_e32 v[16:17], v[175:176], v[24:25]
	v_mul_f64_e32 v[24:25], -0.5, v[58:59]
	v_mul_f64_e32 v[28:29], 0.5, v[200:201]
	v_fma_f64 v[58:59], v[66:67], s[0:1], v[167:168]
	v_fma_f64 v[60:61], v[68:69], s[0:1], v[56:57]
	;; [unrolled: 1-line block ×7, first 2 shown]
	ds_store_2addr_b64 v186, v[34:35], v[96:97] offset0:40 offset1:50
	v_fma_f64 v[26:27], v[163:164], -0.5, v[175:176]
	v_mul_f64_e32 v[34:35], -0.5, v[80:81]
	v_add_f64_e32 v[76:77], v[151:152], v[86:87]
	v_fma_f64 v[80:81], v[149:150], s[2:3], v[114:115]
	v_fma_f64 v[82:83], v[206:207], s[0:1], v[74:75]
	v_add_f64_e64 v[86:87], v[88:89], -v[32:33]
	v_add_f64_e64 v[96:97], v[64:65], -v[22:23]
	v_lshl_add_u32 v102, v133, 3, 0
	v_lshl_add_u32 v104, v136, 3, 0
	;; [unrolled: 1-line block ×6, first 2 shown]
	global_wb scope:SCOPE_SE
	s_wait_dscnt 0x0
	s_barrier_signal -1
	s_barrier_wait -1
	global_inv scope:SCOPE_SE
	v_and_b32_e32 v196, 0xffff, v140
	v_and_b32_e32 v195, 0xffff, v138
	v_add_f64_e32 v[2:3], v[2:3], v[8:9]
	v_fma_f64 v[14:15], v[108:109], s[0:1], v[14:15]
	v_fma_f64 v[8:9], v[206:207], s[2:3], v[74:75]
	;; [unrolled: 1-line block ×3, first 2 shown]
	v_add_f64_e32 v[16:17], v[16:17], v[18:19]
	v_fma_f64 v[12:13], v[120:121], s[0:1], v[28:29]
	v_add_f64_e32 v[74:75], v[88:89], v[32:33]
	v_add_f64_e32 v[84:85], v[60:61], v[58:59]
	;; [unrolled: 1-line block ×4, first 2 shown]
	v_add_f64_e64 v[65:66], v[66:67], -v[70:71]
	v_add_f64_e32 v[70:71], v[68:69], v[4:5]
	v_add_f64_e64 v[90:91], v[60:61], -v[58:59]
	v_fma_f64 v[18:19], v[6:7], s[0:1], v[26:27]
	v_fma_f64 v[6:7], v[6:7], s[2:3], v[26:27]
	;; [unrolled: 1-line block ×3, first 2 shown]
	v_add_f64_e64 v[92:93], v[56:57], -v[62:63]
	v_add_f64_e64 v[67:68], v[68:69], -v[4:5]
	v_add_f64_e32 v[108:109], v[30:31], v[76:77]
	v_add_f64_e64 v[76:77], v[30:31], -v[76:77]
	v_add_f64_e32 v[110:111], v[72:73], v[78:79]
	;; [unrolled: 2-line block ×3, first 2 shown]
	v_add_f64_e64 v[80:81], v[80:81], -v[20:21]
	v_mul_lo_u16 v62, 0x89, v135
	v_mul_u32_u24_e32 v63, 0x8889, v137
	ds_load_b64 v[44:45], v129
	ds_load_b64 v[46:47], v132
	;; [unrolled: 1-line block ×10, first 2 shown]
	v_cmp_gt_u32_e64 s0, 0x78, v0
	v_lshrrev_b16 v64, 13, v62
	s_delay_alu instid0(VALU_DEP_1)
	v_mul_lo_u16 v69, v64, 60
	v_and_b32_e32 v64, 0xffff, v64
	v_add_f64_e32 v[112:113], v[54:55], v[2:3]
	v_add_f64_e32 v[116:117], v[82:83], v[14:15]
	v_add_f64_e64 v[114:115], v[54:55], -v[2:3]
	v_add_f64_e32 v[118:119], v[8:9], v[24:25]
	v_add_f64_e64 v[82:83], v[82:83], -v[14:15]
	v_add_f64_e64 v[120:121], v[8:9], -v[24:25]
	v_add_f64_e32 v[149:150], v[16:17], v[10:11]
	v_add_f64_e64 v[151:152], v[16:17], -v[10:11]
	v_mul_u32_u24_e32 v64, 0x3c0, v64
	v_add_f64_e32 v[153:154], v[18:19], v[12:13]
	v_add_f64_e64 v[157:158], v[18:19], -v[12:13]
	v_add_f64_e64 v[159:160], v[6:7], -v[26:27]
	v_add_f64_e32 v[155:156], v[6:7], v[26:27]
	ds_load_b64 v[54:55], v102
	ds_load_b64 v[56:57], v104
	;; [unrolled: 1-line block ×4, first 2 shown]
	ds_load_2addr_stride64_b64 v[2:5], v184 offset1:30
	ds_load_2addr_stride64_b64 v[30:33], v184 offset0:32 offset1:34
	ds_load_2addr_stride64_b64 v[26:29], v184 offset0:36 offset1:38
	;; [unrolled: 1-line block ×7, first 2 shown]
	global_wb scope:SCOPE_SE
	s_wait_dscnt 0x0
	s_barrier_signal -1
	s_barrier_wait -1
	global_inv scope:SCOPE_SE
	ds_store_2addr_b64 v208, v[74:75], v[84:85] offset1:10
	ds_store_2addr_b64 v208, v[88:89], v[86:87] offset0:20 offset1:30
	ds_store_2addr_b64 v208, v[90:91], v[92:93] offset0:40 offset1:50
	ds_store_2addr_b64 v209, v[94:95], v[98:99] offset1:10
	ds_store_2addr_b64 v209, v[70:71], v[96:97] offset0:20 offset1:30
	ds_store_2addr_b64 v209, v[65:66], v[67:68] offset0:40 offset1:50
	v_lshrrev_b32_e32 v65, 21, v63
	v_sub_nc_u16 v66, v122, v69
	ds_store_2addr_b64 v210, v[108:109], v[110:111] offset1:10
	ds_store_2addr_b64 v210, v[78:79], v[76:77] offset0:20 offset1:30
	ds_store_2addr_b64 v210, v[72:73], v[80:81] offset0:40 offset1:50
	ds_store_2addr_b64 v192, v[112:113], v[116:117] offset1:10
	ds_store_2addr_b64 v192, v[118:119], v[114:115] offset0:20 offset1:30
	v_mul_lo_u16 v67, v65, 60
	v_and_b32_e32 v66, 0xff, v66
	v_mul_u32_u24_e32 v116, 0x8889, v139
	v_mul_u32_u24_e32 v117, 0x8889, v185
	ds_store_2addr_b64 v192, v[82:83], v[120:121] offset0:40 offset1:50
	v_sub_nc_u16 v68, v124, v67
	v_lshlrev_b32_e32 v69, 4, v66
	v_lshrrev_b32_e32 v67, 21, v116
	ds_store_2addr_b64 v186, v[149:150], v[153:154] offset1:10
	ds_store_2addr_b64 v186, v[155:156], v[151:152] offset0:20 offset1:30
	v_and_b32_e32 v71, 0xffff, v68
	ds_store_2addr_b64 v186, v[157:158], v[159:160] offset0:40 offset1:50
	global_wb scope:SCOPE_SE
	s_wait_dscnt 0x0
	s_barrier_signal -1
	s_barrier_wait -1
	v_lshlrev_b32_e32 v68, 4, v71
	global_inv scope:SCOPE_SE
	global_load_b128 v[80:83], v69, s[4:5] offset:800
	v_mul_lo_u16 v70, v67, 60
	v_and_b32_e32 v78, 0xffff, v130
	global_load_b128 v[84:87], v68, s[4:5] offset:800
	v_lshrrev_b32_e32 v69, 21, v117
	ds_load_2addr_stride64_b64 v[161:164], v184 offset0:32 offset1:34
	v_sub_nc_u16 v68, v147, v70
	v_mul_u32_u24_e32 v109, 0x8889, v78
	v_and_b32_e32 v111, 0xffff, v131
	v_mul_lo_u16 v70, v69, 60
	ds_load_2addr_stride64_b64 v[169:172], v184 offset0:36 offset1:38
	v_and_b32_e32 v68, 0xffff, v68
	v_lshrrev_b32_e32 v79, 21, v109
	v_mul_u32_u24_e32 v113, 0x8889, v111
	v_sub_nc_u16 v70, v145, v70
	v_and_b32_e32 v112, 0xffff, v134
	v_lshlrev_b32_e32 v72, 4, v68
	v_mul_u32_u24_e32 v65, 0x3c0, v65
	v_lshrrev_b32_e32 v137, 21, v113
	v_and_b32_e32 v70, 0xffff, v70
	v_mul_u32_u24_e32 v115, 0x8889, v112
	global_load_b128 v[88:91], v72, s[4:5] offset:800
	v_lshlrev_b32_e32 v66, 3, v66
	v_mul_lo_u16 v111, v137, 60
	v_lshlrev_b32_e32 v72, 4, v70
	v_lshrrev_b32_e32 v198, 21, v115
	v_lshlrev_b32_e32 v71, 3, v71
	v_lshlrev_b32_e32 v68, 3, v68
	;; [unrolled: 1-line block ×3, first 2 shown]
	global_load_b128 v[92:95], v72, s[4:5] offset:800
	v_and_b32_e32 v72, 0xffff, v143
	v_add3_u32 v208, 0, v65, v71
	v_mul_u32_u24_e32 v137, 0x3c0, v137
	s_delay_alu instid0(VALU_DEP_3) | instskip(NEXT) | instid1(VALU_DEP_1)
	v_mul_u32_u24_e32 v118, 0x8889, v72
	v_lshrrev_b32_e32 v73, 21, v118
	s_delay_alu instid0(VALU_DEP_1) | instskip(NEXT) | instid1(VALU_DEP_1)
	v_mul_lo_u16 v72, v73, 60
	v_sub_nc_u16 v72, v143, v72
	s_delay_alu instid0(VALU_DEP_1) | instskip(NEXT) | instid1(VALU_DEP_1)
	v_and_b32_e32 v72, 0xffff, v72
	v_lshlrev_b32_e32 v74, 4, v72
	v_lshlrev_b32_e32 v71, 3, v72
	global_load_b128 v[96:99], v74, s[4:5] offset:800
	v_and_b32_e32 v74, 0xffff, v141
	s_delay_alu instid0(VALU_DEP_1) | instskip(NEXT) | instid1(VALU_DEP_1)
	v_mul_u32_u24_e32 v119, 0x8889, v74
	v_lshrrev_b32_e32 v75, 21, v119
	s_delay_alu instid0(VALU_DEP_1) | instskip(NEXT) | instid1(VALU_DEP_1)
	v_mul_lo_u16 v74, v75, 60
	v_sub_nc_u16 v74, v141, v74
	s_delay_alu instid0(VALU_DEP_1) | instskip(NEXT) | instid1(VALU_DEP_1)
	v_and_b32_e32 v74, 0xffff, v74
	v_lshlrev_b32_e32 v76, 4, v74
	global_load_b128 v[149:152], v76, s[4:5] offset:800
	v_and_b32_e32 v76, 0xffff, v128
	s_delay_alu instid0(VALU_DEP_1) | instskip(NEXT) | instid1(VALU_DEP_1)
	v_mul_u32_u24_e32 v108, 0x8889, v76
	v_lshrrev_b32_e32 v76, 21, v108
	s_delay_alu instid0(VALU_DEP_1) | instskip(NEXT) | instid1(VALU_DEP_1)
	v_mul_lo_u16 v77, v76, 60
	v_sub_nc_u16 v77, v128, v77
	s_delay_alu instid0(VALU_DEP_1) | instskip(NEXT) | instid1(VALU_DEP_1)
	v_and_b32_e32 v77, 0xffff, v77
	v_lshlrev_b32_e32 v78, 4, v77
	global_load_b128 v[153:156], v78, s[4:5] offset:800
	v_mul_lo_u16 v78, v79, 60
	s_delay_alu instid0(VALU_DEP_1) | instskip(NEXT) | instid1(VALU_DEP_1)
	v_sub_nc_u16 v78, v130, v78
	v_and_b32_e32 v78, 0xffff, v78
	s_delay_alu instid0(VALU_DEP_1) | instskip(SKIP_2) | instid1(VALU_DEP_1)
	v_lshlrev_b32_e32 v110, 4, v78
	global_load_b128 v[157:160], v110, s[4:5] offset:800
	v_mul_lo_u16 v110, 0x89, v0
	v_lshrrev_b16 v135, 13, v110
	s_delay_alu instid0(VALU_DEP_1) | instskip(SKIP_1) | instid1(VALU_DEP_2)
	v_mul_lo_u16 v110, v135, 60
	v_and_b32_e32 v135, 0xffff, v135
	v_sub_nc_u16 v110, v0, v110
	s_delay_alu instid0(VALU_DEP_2) | instskip(NEXT) | instid1(VALU_DEP_2)
	v_mul_u32_u24_e32 v135, 0x3c0, v135
	v_and_b32_e32 v139, 0xff, v110
	v_sub_nc_u16 v110, v131, v111
	s_delay_alu instid0(VALU_DEP_2) | instskip(NEXT) | instid1(VALU_DEP_2)
	v_lshlrev_b32_e32 v111, 4, v139
	v_and_b32_e32 v197, 0xffff, v110
	v_lshlrev_b32_e32 v139, 3, v139
	global_load_b128 v[165:168], v111, s[4:5] offset:800
	v_lshlrev_b32_e32 v110, 4, v197
	v_add3_u32 v135, 0, v135, v139
	v_add3_u32 v139, 0, v64, v66
	v_mul_u32_u24_e32 v66, 0x3c0, v67
	v_mul_u32_u24_e32 v67, 0x3c0, v69
	global_load_b128 v[173:176], v110, s[4:5] offset:800
	v_mul_lo_u16 v111, v198, 60
	v_mul_u32_u24_e32 v69, 0x3c0, v73
	s_delay_alu instid0(VALU_DEP_2) | instskip(SKIP_1) | instid1(VALU_DEP_2)
	v_sub_nc_u16 v110, v134, v111
	v_and_b32_e32 v111, 0xffff, v133
	v_and_b32_e32 v199, 0xffff, v110
	s_delay_alu instid0(VALU_DEP_2) | instskip(SKIP_1) | instid1(VALU_DEP_3)
	v_mul_u32_u24_e32 v114, 0x8889, v111
	v_mul_u32_u24_e32 v111, 0x8889, v196
	v_lshlrev_b32_e32 v110, 4, v199
	s_delay_alu instid0(VALU_DEP_3) | instskip(NEXT) | instid1(VALU_DEP_3)
	v_lshrrev_b32_e32 v200, 21, v114
	v_lshrrev_b32_e32 v203, 21, v111
	global_load_b128 v[185:188], v110, s[4:5] offset:800
	s_wait_loadcnt_dscnt 0xa01
	v_mul_f64_e32 v[120:121], v[161:162], v[82:83]
	v_mul_f64_e32 v[82:83], v[30:31], v[82:83]
	s_wait_loadcnt 0x9
	v_mul_f64_e32 v[189:190], v[163:164], v[86:87]
	v_mul_f64_e32 v[86:87], v[32:33], v[86:87]
	s_wait_loadcnt_dscnt 0x800
	v_mul_f64_e32 v[191:192], v[169:170], v[90:91]
	v_mul_f64_e32 v[90:91], v[26:27], v[90:91]
	s_wait_loadcnt 0x7
	v_mul_f64_e32 v[193:194], v[171:172], v[94:95]
	v_fma_f64 v[120:121], v[30:31], v[80:81], v[120:121]
	v_mul_lo_u16 v30, v200, 60
	v_fma_f64 v[161:162], v[161:162], v[80:81], -v[82:83]
	v_fma_f64 v[189:190], v[32:33], v[84:85], v[189:190]
	v_mul_lo_u16 v32, v203, 60
	v_fma_f64 v[163:164], v[163:164], v[84:85], -v[86:87]
	v_sub_nc_u16 v30, v133, v30
	s_delay_alu instid0(VALU_DEP_3) | instskip(NEXT) | instid1(VALU_DEP_2)
	v_sub_nc_u16 v32, v140, v32
	v_and_b32_e32 v204, 0xffff, v30
	s_delay_alu instid0(VALU_DEP_2) | instskip(NEXT) | instid1(VALU_DEP_2)
	v_and_b32_e32 v207, 0xffff, v32
	v_lshlrev_b32_e32 v30, 4, v204
	s_delay_alu instid0(VALU_DEP_2)
	v_lshlrev_b32_e32 v196, 4, v207
	v_fma_f64 v[191:192], v[26:27], v[88:89], v[191:192]
	v_fma_f64 v[169:170], v[169:170], v[88:89], -v[90:91]
	v_mul_f64_e32 v[88:89], v[28:29], v[94:95]
	v_fma_f64 v[94:95], v[28:29], v[92:93], v[193:194]
	global_load_b128 v[26:29], v196, s[4:5] offset:800
	v_and_b32_e32 v110, 0xffff, v136
	s_delay_alu instid0(VALU_DEP_1) | instskip(SKIP_1) | instid1(VALU_DEP_2)
	v_mul_u32_u24_e32 v112, 0x8889, v110
	v_mul_u32_u24_e32 v110, 0x8889, v195
	v_lshrrev_b32_e32 v201, 21, v112
	s_delay_alu instid0(VALU_DEP_2) | instskip(NEXT) | instid1(VALU_DEP_2)
	v_lshrrev_b32_e32 v202, 21, v110
	v_mul_lo_u16 v31, v201, 60
	s_delay_alu instid0(VALU_DEP_2) | instskip(NEXT) | instid1(VALU_DEP_2)
	v_mul_lo_u16 v80, v202, 60
	v_sub_nc_u16 v31, v136, v31
	s_delay_alu instid0(VALU_DEP_2) | instskip(NEXT) | instid1(VALU_DEP_2)
	v_sub_nc_u16 v33, v138, v80
	v_and_b32_e32 v205, 0xffff, v31
	s_delay_alu instid0(VALU_DEP_2)
	v_and_b32_e32 v206, 0xffff, v33
	global_load_b128 v[30:33], v30, s[4:5] offset:800
	v_lshlrev_b32_e32 v80, 4, v205
	v_lshlrev_b32_e32 v195, 4, v206
	v_fma_f64 v[92:93], v[171:172], v[92:93], -v[88:89]
	ds_load_2addr_stride64_b64 v[88:91], v184 offset0:40 offset1:42
	s_clause 0x1
	global_load_b128 v[80:83], v80, s[4:5] offset:800
	global_load_b128 v[84:87], v195, s[4:5] offset:800
	s_wait_loadcnt_dscnt 0xa00
	v_mul_f64_e32 v[171:172], v[88:89], v[98:99]
	v_mul_f64_e32 v[98:99], v[22:23], v[98:99]
	s_delay_alu instid0(VALU_DEP_2) | instskip(SKIP_2) | instid1(VALU_DEP_3)
	v_fma_f64 v[171:172], v[22:23], v[96:97], v[171:172]
	s_wait_loadcnt 0x9
	v_mul_f64_e32 v[22:23], v[90:91], v[151:152]
	v_fma_f64 v[96:97], v[88:89], v[96:97], -v[98:99]
	v_mul_f64_e32 v[88:89], v[24:25], v[151:152]
	s_delay_alu instid0(VALU_DEP_3)
	v_fma_f64 v[98:99], v[24:25], v[149:150], v[22:23]
	ds_load_2addr_stride64_b64 v[22:25], v184 offset0:44 offset1:46
	v_fma_f64 v[149:150], v[90:91], v[149:150], -v[88:89]
	s_wait_loadcnt 0x8
	v_mul_f64_e32 v[90:91], v[18:19], v[155:156]
	s_wait_dscnt 0x0
	v_mul_f64_e32 v[88:89], v[22:23], v[155:156]
	s_wait_loadcnt 0x7
	v_mul_f64_e32 v[151:152], v[24:25], v[159:160]
	v_mul_f64_e32 v[155:156], v[20:21], v[159:160]
	s_delay_alu instid0(VALU_DEP_3)
	v_fma_f64 v[159:160], v[18:19], v[153:154], v[88:89]
	v_fma_f64 v[153:154], v[22:23], v[153:154], -v[90:91]
	ds_load_2addr_stride64_b64 v[88:91], v184 offset0:48 offset1:50
	v_fma_f64 v[151:152], v[20:21], v[157:158], v[151:152]
	v_fma_f64 v[155:156], v[24:25], v[157:158], -v[155:156]
	ds_load_2addr_stride64_b64 v[18:21], v184 offset0:52 offset1:54
	s_wait_loadcnt_dscnt 0x501
	v_mul_f64_e32 v[22:23], v[88:89], v[175:176]
	v_mul_f64_e32 v[175:176], v[10:11], v[175:176]
	s_wait_loadcnt 0x4
	v_mul_f64_e32 v[157:158], v[90:91], v[187:188]
	v_mul_f64_e32 v[187:188], v[12:13], v[187:188]
	s_delay_alu instid0(VALU_DEP_4)
	v_fma_f64 v[193:194], v[10:11], v[173:174], v[22:23]
	ds_load_2addr_stride64_b64 v[22:25], v184 offset0:56 offset1:58
	v_fma_f64 v[88:89], v[88:89], v[173:174], -v[175:176]
	v_fma_f64 v[90:91], v[90:91], v[185:186], -v[187:188]
	v_fma_f64 v[157:158], v[12:13], v[185:186], v[157:158]
	ds_load_2addr_stride64_b64 v[10:13], v184 offset1:30
	s_wait_dscnt 0x0
	v_mul_f64_e32 v[195:196], v[12:13], v[167:168]
	s_wait_loadcnt 0x3
	v_mul_f64_e32 v[187:188], v[24:25], v[28:29]
	s_wait_loadcnt 0x2
	v_mul_f64_e32 v[173:174], v[18:19], v[32:33]
	v_mul_f64_e32 v[32:33], v[6:7], v[32:33]
	s_wait_loadcnt 0x1
	v_mul_f64_e32 v[175:176], v[20:21], v[82:83]
	s_wait_loadcnt 0x0
	v_mul_f64_e32 v[185:186], v[22:23], v[86:87]
	s_delay_alu instid0(VALU_DEP_4) | instskip(NEXT) | instid1(VALU_DEP_4)
	v_fma_f64 v[6:7], v[6:7], v[30:31], v[173:174]
	v_fma_f64 v[18:19], v[18:19], v[30:31], -v[32:33]
	v_mul_u32_u24_e32 v173, 0x3c0, v75
	v_mul_u32_u24_e32 v174, 0x3c0, v76
	v_fma_f64 v[64:65], v[8:9], v[80:81], v[175:176]
	v_mul_f64_e32 v[8:9], v[8:9], v[82:83]
	v_mul_f64_e32 v[82:83], v[14:15], v[86:87]
	v_fma_f64 v[86:87], v[16:17], v[26:27], v[187:188]
	v_mul_f64_e32 v[16:17], v[16:17], v[28:29]
	v_mul_f64_e32 v[28:29], v[4:5], v[167:168]
	v_fma_f64 v[4:5], v[4:5], v[165:166], v[195:196]
	v_fma_f64 v[14:15], v[14:15], v[84:85], v[185:186]
	v_mul_u32_u24_e32 v176, 0x3c0, v198
	v_mul_u32_u24_e32 v198, 0x3c0, v200
	;; [unrolled: 1-line block ×5, first 2 shown]
	v_lshlrev_b32_e32 v188, 3, v197
	v_lshlrev_b32_e32 v195, 3, v199
	;; [unrolled: 1-line block ×6, first 2 shown]
	v_add3_u32 v205, 0, v66, v68
	v_add3_u32 v206, 0, v67, v70
	v_add3_u32 v207, 0, v69, v71
	v_mul_u32_u24_e32 v175, 0x3c0, v79
	v_lshlrev_b32_e32 v187, 3, v78
	v_add_f64_e64 v[78:79], v[52:53], -v[191:192]
	v_lshlrev_b32_e32 v185, 3, v74
	v_lshlrev_b32_e32 v186, 3, v77
	v_add3_u32 v137, 0, v137, v188
	v_add3_u32 v211, 0, v175, v187
	;; [unrolled: 1-line block ×3, first 2 shown]
	v_add_f64_e64 v[6:7], v[54:55], -v[6:7]
	v_add3_u32 v209, 0, v173, v185
	v_add3_u32 v210, 0, v174, v186
	v_add3_u32 v213, 0, v198, v197
	v_add3_u32 v203, 0, v201, v203
	v_add3_u32 v204, 0, v202, v204
	v_add3_u32 v214, 0, v200, v199
	v_add_f64_e64 v[64:65], v[56:57], -v[64:65]
	v_fma_f64 v[8:9], v[20:21], v[80:81], -v[8:9]
	v_fma_f64 v[22:23], v[22:23], v[84:85], -v[82:83]
	v_add_f64_e64 v[80:81], v[50:51], -v[94:95]
	v_fma_f64 v[16:17], v[24:25], v[26:27], -v[16:17]
	v_fma_f64 v[12:13], v[12:13], v[165:166], -v[28:29]
	ds_load_b64 v[28:29], v129
	ds_load_b64 v[66:67], v132
	;; [unrolled: 1-line block ×3, first 2 shown]
	v_add_f64_e64 v[4:5], v[2:3], -v[4:5]
	v_add_f64_e64 v[24:25], v[44:45], -v[120:121]
	;; [unrolled: 1-line block ×3, first 2 shown]
	ds_load_b64 v[20:21], v100
	ds_load_b64 v[30:31], v101
	;; [unrolled: 1-line block ×7, first 2 shown]
	v_add_f64_e64 v[82:83], v[34:35], -v[171:172]
	v_add_f64_e64 v[84:85], v[36:37], -v[98:99]
	;; [unrolled: 1-line block ×5, first 2 shown]
	ds_load_b64 v[157:158], v102
	ds_load_b64 v[159:160], v104
	;; [unrolled: 1-line block ×4, first 2 shown]
	v_add_f64_e64 v[120:121], v[42:43], -v[193:194]
	v_add_f64_e64 v[14:15], v[58:59], -v[14:15]
	;; [unrolled: 1-line block ×3, first 2 shown]
	global_wb scope:SCOPE_SE
	s_wait_dscnt 0x0
	s_barrier_signal -1
	s_barrier_wait -1
	v_add_f64_e64 v[161:162], v[28:29], -v[161:162]
	v_add_f64_e64 v[163:164], v[66:67], -v[163:164]
	;; [unrolled: 1-line block ×11, first 2 shown]
	global_inv scope:SCOPE_SE
	v_add_f64_e64 v[191:192], v[159:160], -v[8:9]
	v_add_f64_e64 v[193:194], v[165:166], -v[22:23]
	v_fma_f64 v[18:19], v[50:51], 2.0, -v[80:81]
	v_add_f64_e64 v[195:196], v[167:168], -v[16:17]
	v_add_f64_e64 v[171:172], v[10:11], -v[12:13]
	v_fma_f64 v[16:17], v[52:53], 2.0, -v[78:79]
	v_fma_f64 v[2:3], v[2:3], 2.0, -v[4:5]
	;; [unrolled: 1-line block ×14, first 2 shown]
	ds_store_2addr_b64 v135, v[2:3], v[4:5] offset1:60
	ds_store_2addr_b64 v139, v[8:9], v[24:25] offset1:60
	;; [unrolled: 1-line block ×15, first 2 shown]
	v_fma_f64 v[52:53], v[10:11], 2.0, -v[171:172]
	v_fma_f64 v[54:55], v[28:29], 2.0, -v[161:162]
	;; [unrolled: 1-line block ×15, first 2 shown]
	v_lshrrev_b16 v120, 14, v62
	v_lshrrev_b32_e32 v151, 22, v117
	v_lshrrev_b32_e32 v121, 22, v63
	global_wb scope:SCOPE_SE
	s_wait_dscnt 0x0
	s_barrier_signal -1
	v_mul_lo_u16 v34, 0x78, v120
	v_mul_lo_u16 v42, 0x78, v151
	s_barrier_wait -1
	global_inv scope:SCOPE_SE
	ds_load_b64 v[82:83], v129
	ds_load_b64 v[84:85], v132
	;; [unrolled: 1-line block ×14, first 2 shown]
	ds_load_2addr_stride64_b64 v[2:5], v184 offset1:30
	ds_load_2addr_stride64_b64 v[30:33], v184 offset0:32 offset1:34
	ds_load_2addr_stride64_b64 v[26:29], v184 offset0:36 offset1:38
	;; [unrolled: 1-line block ×7, first 2 shown]
	v_sub_nc_u16 v34, v122, v34
	global_wb scope:SCOPE_SE
	s_wait_dscnt 0x0
	s_barrier_signal -1
	s_barrier_wait -1
	global_inv scope:SCOPE_SE
	ds_store_2addr_b64 v135, v[52:53], v[171:172] offset1:60
	ds_store_2addr_b64 v139, v[54:55], v[161:162] offset1:60
	v_mul_lo_u16 v35, 0x78, v121
	v_and_b32_e32 v135, 0xff, v34
	v_sub_nc_u16 v42, v145, v42
	ds_store_2addr_b64 v208, v[56:57], v[163:164] offset1:60
	ds_store_2addr_b64 v205, v[58:59], v[169:170] offset1:60
	;; [unrolled: 1-line block ×4, first 2 shown]
	v_sub_nc_u16 v34, v124, v35
	v_lshlrev_b32_e32 v35, 4, v135
	v_and_b32_e32 v152, 0xffff, v42
	ds_store_2addr_b64 v209, v[68:69], v[149:150] offset1:60
	ds_store_2addr_b64 v210, v[197:198], v[153:154] offset1:60
	;; [unrolled: 1-line block ×9, first 2 shown]
	global_wb scope:SCOPE_SE
	s_wait_dscnt 0x0
	s_barrier_signal -1
	v_lshrrev_b32_e32 v137, 22, v116
	s_barrier_wait -1
	global_inv scope:SCOPE_SE
	global_load_b128 v[46:49], v35, s[4:5] offset:1760
	v_lshlrev_b32_e32 v42, 4, v152
	v_and_b32_e32 v149, 0xffff, v34
	v_lshrrev_b32_e32 v153, 22, v118
	v_lshrrev_b32_e32 v155, 22, v119
	;; [unrolled: 1-line block ×3, first 2 shown]
	global_load_b128 v[42:45], v42, s[4:5] offset:1760
	v_mul_lo_u16 v35, 0x78, v137
	v_mul_lo_u16 v50, 0x78, v153
	;; [unrolled: 1-line block ×4, first 2 shown]
	ds_load_2addr_stride64_b64 v[163:166], v184 offset0:32 offset1:34
	v_sub_nc_u16 v34, v147, v35
	v_lshlrev_b32_e32 v35, 4, v149
	v_sub_nc_u16 v50, v143, v50
	v_sub_nc_u16 v54, v141, v54
	;; [unrolled: 1-line block ×3, first 2 shown]
	v_and_b32_e32 v139, 0xffff, v34
	global_load_b128 v[34:37], v35, s[4:5] offset:1760
	v_and_b32_e32 v150, 0xffff, v50
	v_and_b32_e32 v154, 0xffff, v54
	;; [unrolled: 1-line block ×3, first 2 shown]
	v_lshlrev_b32_e32 v38, 4, v139
	v_lshrrev_b32_e32 v159, 22, v109
	v_lshlrev_b32_e32 v50, 4, v150
	v_lshlrev_b32_e32 v54, 4, v154
	;; [unrolled: 1-line block ×3, first 2 shown]
	global_load_b128 v[38:41], v38, s[4:5] offset:1760
	v_lshrrev_b32_e32 v160, 22, v113
	s_clause 0x2
	global_load_b128 v[50:53], v50, s[4:5] offset:1760
	global_load_b128 v[54:57], v54, s[4:5] offset:1760
	;; [unrolled: 1-line block ×3, first 2 shown]
	v_mul_lo_u16 v62, 0x78, v159
	v_mul_lo_u16 v66, 0x78, v160
	v_add_nc_u32_e32 v67, 0xffffff88, v0
	v_mov_b32_e32 v71, 0
	v_lshrrev_b32_e32 v162, 22, v115
	v_sub_nc_u16 v62, v130, v62
	v_sub_nc_u16 v66, v131, v66
	s_wait_alu 0xf1ff
	v_cndmask_b32_e64 v70, v67, v0, s0
	v_lshrrev_b32_e32 v201, 22, v110
	v_mul_lo_u16 v68, 0x78, v162
	v_and_b32_e32 v158, 0xffff, v62
	v_and_b32_e32 v161, 0xffff, v66
	v_lshlrev_b64_e32 v[66:67], 4, v[70:71]
	v_mul_lo_u16 v196, 0x78, v201
	v_sub_nc_u16 v185, v134, v68
	v_lshlrev_b32_e32 v62, 4, v158
	v_lshlrev_b32_e32 v69, 4, v161
	v_lshrrev_b32_e32 v199, 22, v114
	v_add_co_u32 v66, s0, s4, v66
	global_load_b128 v[62:65], v62, s[4:5] offset:1760
	s_wait_alu 0xf1ff
	v_add_co_ci_u32_e64 v67, s0, s5, v67, s0
	s_clause 0x1
	global_load_b128 v[167:170], v69, s[4:5] offset:1760
	global_load_b128 v[66:69], v[66:67], off offset:1760
	ds_load_2addr_stride64_b64 v[171:174], v184 offset0:36 offset1:38
	v_lshrrev_b32_e32 v200, 22, v112
	v_lshrrev_b32_e32 v202, 22, v111
	v_cmp_lt_u32_e64 s0, 0x77, v0
	v_lshlrev_b32_e32 v139, 3, v139
	v_mul_u32_u24_e32 v209, 0x780, v199
	v_mul_lo_u16 v195, 0x78, v200
	v_mul_u32_u24_e32 v210, 0x780, v200
	v_lshlrev_b32_e32 v200, 3, v161
	v_mul_u32_u24_e32 v211, 0x780, v201
	v_mul_u32_u24_e32 v212, 0x780, v202
	s_wait_loadcnt_dscnt 0x901
	v_mul_f64_e32 v[175:176], v[163:164], v[48:49]
	v_mul_f64_e32 v[189:190], v[30:31], v[48:49]
	v_and_b32_e32 v48, 0xffff, v185
	s_delay_alu instid0(VALU_DEP_1)
	v_lshlrev_b32_e32 v49, 4, v48
	v_lshlrev_b32_e32 v48, 3, v48
	global_load_b128 v[185:188], v49, s[4:5] offset:1760
	s_wait_loadcnt 0x8
	v_mul_f64_e32 v[191:192], v[165:166], v[36:37]
	v_mul_f64_e32 v[36:37], v[32:33], v[36:37]
	s_wait_loadcnt_dscnt 0x700
	v_mul_f64_e32 v[193:194], v[171:172], v[40:41]
	v_mul_f64_e32 v[40:41], v[26:27], v[40:41]
	v_fma_f64 v[175:176], v[30:31], v[46:47], v[175:176]
	v_fma_f64 v[46:47], v[163:164], v[46:47], -v[189:190]
	v_sub_nc_u16 v163, v138, v196
	v_mul_lo_u16 v30, 0x78, v202
	v_sub_nc_u16 v31, v136, v195
	s_delay_alu instid0(VALU_DEP_3) | instskip(NEXT) | instid1(VALU_DEP_3)
	v_and_b32_e32 v205, 0xffff, v163
	v_sub_nc_u16 v30, v140, v30
	s_delay_alu instid0(VALU_DEP_3) | instskip(NEXT) | instid1(VALU_DEP_3)
	v_and_b32_e32 v204, 0xffff, v31
	v_lshlrev_b32_e32 v163, 4, v205
	s_delay_alu instid0(VALU_DEP_3)
	v_and_b32_e32 v206, 0xffff, v30
	v_lshlrev_b32_e32 v205, 3, v205
	v_fma_f64 v[189:190], v[32:33], v[34:35], v[191:192]
	v_fma_f64 v[191:192], v[165:166], v[34:35], -v[36:37]
	global_load_b128 v[163:166], v163, s[4:5] offset:1760
	v_mul_lo_u16 v49, 0x78, v199
	v_lshlrev_b32_e32 v199, 3, v158
	v_add3_u32 v205, 0, v211, v205
	s_delay_alu instid0(VALU_DEP_3) | instskip(SKIP_3) | instid1(VALU_DEP_4)
	v_sub_nc_u16 v49, v133, v49
	v_fma_f64 v[193:194], v[26:27], v[38:39], v[193:194]
	v_fma_f64 v[171:172], v[171:172], v[38:39], -v[40:41]
	v_mul_f64_e32 v[26:27], v[173:174], v[44:45]
	v_and_b32_e32 v203, 0xffff, v49
	v_lshlrev_b32_e32 v49, 4, v204
	v_lshlrev_b32_e32 v204, 3, v204
	s_delay_alu instid0(VALU_DEP_3)
	v_lshlrev_b32_e32 v31, 4, v203
	global_load_b128 v[34:37], v49, s[4:5] offset:1760
	v_lshlrev_b32_e32 v49, 4, v206
	v_lshlrev_b32_e32 v203, 3, v203
	;; [unrolled: 1-line block ×3, first 2 shown]
	global_load_b128 v[30:33], v31, s[4:5] offset:1760
	v_add3_u32 v204, 0, v210, v204
	global_load_b128 v[38:41], v49, s[4:5] offset:1760
	v_add3_u32 v203, 0, v209, v203
	v_add3_u32 v206, 0, v212, v206
	v_fma_f64 v[195:196], v[28:29], v[42:43], v[26:27]
	v_mul_f64_e32 v[26:27], v[28:29], v[44:45]
	s_delay_alu instid0(VALU_DEP_1)
	v_fma_f64 v[42:43], v[173:174], v[42:43], -v[26:27]
	ds_load_2addr_stride64_b64 v[26:29], v184 offset0:40 offset1:42
	s_wait_loadcnt_dscnt 0xa00
	v_mul_f64_e32 v[44:45], v[26:27], v[52:53]
	v_mul_f64_e32 v[52:53], v[22:23], v[52:53]
	s_wait_loadcnt 0x9
	v_mul_f64_e32 v[173:174], v[28:29], v[56:57]
	s_delay_alu instid0(VALU_DEP_3) | instskip(NEXT) | instid1(VALU_DEP_3)
	v_fma_f64 v[44:45], v[22:23], v[50:51], v[44:45]
	v_fma_f64 v[49:50], v[26:27], v[50:51], -v[52:53]
	v_mul_f64_e32 v[26:27], v[24:25], v[56:57]
	s_delay_alu instid0(VALU_DEP_4)
	v_fma_f64 v[51:52], v[24:25], v[54:55], v[173:174]
	ds_load_2addr_stride64_b64 v[22:25], v184 offset0:44 offset1:46
	s_wait_loadcnt_dscnt 0x800
	v_mul_f64_e32 v[56:57], v[22:23], v[60:61]
	v_add_f64_e64 v[44:45], v[72:73], -v[44:45]
	v_fma_f64 v[53:54], v[28:29], v[54:55], -v[26:27]
	v_mul_f64_e32 v[26:27], v[18:19], v[60:61]
	s_wait_loadcnt 0x7
	v_mul_f64_e32 v[60:61], v[24:25], v[64:65]
	v_mul_f64_e32 v[64:65], v[20:21], v[64:65]
	v_add_f64_e64 v[51:52], v[74:75], -v[51:52]
	v_fma_f64 v[55:56], v[18:19], v[58:59], v[56:57]
	v_fma_f64 v[57:58], v[22:23], v[58:59], -v[26:27]
	ds_load_2addr_stride64_b64 v[26:29], v184 offset0:48 offset1:50
	v_fma_f64 v[59:60], v[20:21], v[62:63], v[60:61]
	v_fma_f64 v[61:62], v[24:25], v[62:63], -v[64:65]
	ds_load_2addr_stride64_b64 v[18:21], v184 offset0:52 offset1:54
	v_add_nc_u32_e32 v65, 0xffffff90, v0
	s_wait_loadcnt_dscnt 0x601
	v_mul_f64_e32 v[22:23], v[26:27], v[169:170]
	v_mul_f64_e32 v[169:170], v[14:15], v[169:170]
	v_add_f64_e64 v[55:56], v[76:77], -v[55:56]
	v_add_f64_e64 v[59:60], v[78:79], -v[59:60]
	s_wait_loadcnt 0x4
	v_mul_f64_e32 v[173:174], v[28:29], v[187:188]
	v_mul_f64_e32 v[63:64], v[16:17], v[187:188]
	v_fma_f64 v[187:188], v[14:15], v[167:168], v[22:23]
	ds_load_2addr_stride64_b64 v[22:25], v184 offset0:56 offset1:58
	v_fma_f64 v[26:27], v[26:27], v[167:168], -v[169:170]
	s_wait_alu 0xf1ff
	v_cndmask_b32_e64 v14, 0, 0x780, s0
	v_lshlrev_b32_e32 v15, 3, v70
	v_cmp_gt_u32_e64 s0, 0xf0, v122
	s_delay_alu instid0(VALU_DEP_2) | instskip(SKIP_1) | instid1(VALU_DEP_2)
	v_add3_u32 v207, 0, v14, v15
	s_wait_alu 0xf1ff
	v_cndmask_b32_e64 v70, v65, v122, s0
	v_and_b32_e32 v65, 0xffff, v120
	v_mul_u32_u24_e32 v120, 0x780, v121
	v_lshlrev_b32_e32 v121, 3, v135
	v_lshlrev_b32_e32 v135, 3, v149
	;; [unrolled: 1-line block ×3, first 2 shown]
	v_mul_u32_u24_e32 v65, 0x780, v65
	v_lshlrev_b64_e32 v[167:168], 4, v[70:71]
	v_lshlrev_b32_e32 v70, 3, v70
	v_add3_u32 v135, 0, v120, v135
	s_delay_alu instid0(VALU_DEP_4)
	v_add3_u32 v208, 0, v65, v121
	v_mul_u32_u24_e32 v65, 0x780, v137
	v_mul_u32_u24_e32 v137, 0x780, v151
	v_add_co_u32 v167, s0, s4, v167
	s_wait_alu 0xf1ff
	v_add_co_ci_u32_e64 v168, s0, s5, v168, s0
	v_add3_u32 v139, 0, v65, v139
	v_fma_f64 v[169:170], v[16:17], v[185:186], v[173:174]
	v_fma_f64 v[28:29], v[28:29], v[185:186], -v[63:64]
	ds_load_2addr_stride64_b64 v[14:17], v184 offset1:30
	v_mul_u32_u24_e32 v65, 0x780, v153
	v_add3_u32 v137, 0, v137, v149
	s_wait_loadcnt_dscnt 0x301
	v_mul_f64_e32 v[185:186], v[22:23], v[165:166]
	s_wait_dscnt 0x0
	v_mul_f64_e32 v[120:121], v[16:17], v[68:69]
	s_wait_loadcnt 0x2
	v_mul_f64_e32 v[173:174], v[20:21], v[36:37]
	s_wait_loadcnt 0x1
	v_mul_f64_e32 v[63:64], v[18:19], v[32:33]
	v_mul_f64_e32 v[32:33], v[10:11], v[32:33]
	s_wait_loadcnt 0x0
	v_mul_f64_e32 v[197:198], v[24:25], v[40:41]
	s_delay_alu instid0(VALU_DEP_3) | instskip(SKIP_1) | instid1(VALU_DEP_3)
	v_fma_f64 v[10:11], v[10:11], v[30:31], v[63:64]
	v_fma_f64 v[63:64], v[12:13], v[34:35], v[173:174]
	;; [unrolled: 1-line block ×3, first 2 shown]
	v_mul_f64_e32 v[8:9], v[8:9], v[40:41]
	v_mul_f64_e32 v[40:41], v[4:5], v[68:69]
	;; [unrolled: 1-line block ×4, first 2 shown]
	v_fma_f64 v[4:5], v[4:5], v[66:67], v[120:121]
	v_fma_f64 v[6:7], v[6:7], v[163:164], v[185:186]
	v_fma_f64 v[18:19], v[18:19], v[30:31], -v[32:33]
	v_lshlrev_b32_e32 v68, 3, v150
	v_mul_u32_u24_e32 v174, 0x780, v159
	v_mul_u32_u24_e32 v185, 0x780, v160
	;; [unrolled: 1-line block ×3, first 2 shown]
	v_add_f64_e64 v[159:160], v[86:87], -v[169:170]
	v_add3_u32 v213, 0, v65, v68
	v_mul_u32_u24_e32 v173, 0x780, v157
	v_lshlrev_b32_e32 v198, 3, v156
	v_add3_u32 v216, 0, v174, v199
	v_add3_u32 v217, 0, v185, v200
	;; [unrolled: 1-line block ×3, first 2 shown]
	v_lshlrev_b32_e32 v197, 3, v154
	v_add3_u32 v215, 0, v173, v198
	v_add_f64_e64 v[153:154], v[98:99], -v[193:194]
	v_mul_u32_u24_e32 v69, 0x780, v155
	v_add_f64_e64 v[155:156], v[96:97], -v[195:196]
	v_add_f64_e64 v[157:158], v[80:81], -v[187:188]
	s_delay_alu instid0(VALU_DEP_3)
	v_add3_u32 v214, 0, v69, v197
	v_add_f64_e64 v[10:11], v[88:89], -v[10:11]
	v_add_f64_e64 v[63:64], v[90:91], -v[63:64]
	;; [unrolled: 1-line block ×3, first 2 shown]
	v_fma_f64 v[8:9], v[24:25], v[38:39], -v[8:9]
	v_fma_f64 v[16:17], v[16:17], v[66:67], -v[40:41]
	;; [unrolled: 1-line block ×4, first 2 shown]
	ds_load_b64 v[40:41], v129
	ds_load_b64 v[65:66], v132
	;; [unrolled: 1-line block ×14, first 2 shown]
	v_add_f64_e64 v[4:5], v[2:3], -v[4:5]
	v_add_f64_e64 v[38:39], v[84:85], -v[189:190]
	;; [unrolled: 1-line block ×4, first 2 shown]
	global_wb scope:SCOPE_SE
	s_wait_dscnt 0x0
	s_barrier_signal -1
	s_barrier_wait -1
	global_inv scope:SCOPE_SE
	v_add_f64_e64 v[175:176], v[40:41], -v[46:47]
	v_add_f64_e64 v[185:186], v[65:66], -v[191:192]
	;; [unrolled: 1-line block ×11, first 2 shown]
	v_fma_f64 v[48:49], v[86:87], 2.0, -v[159:160]
	v_fma_f64 v[26:27], v[74:75], 2.0, -v[51:52]
	;; [unrolled: 1-line block ×4, first 2 shown]
	v_add_f64_e64 v[201:202], v[169:170], -v[8:9]
	v_add_f64_e64 v[173:174], v[14:15], -v[16:17]
	;; [unrolled: 1-line block ×4, first 2 shown]
	v_fma_f64 v[22:23], v[72:73], 2.0, -v[44:45]
	v_fma_f64 v[72:73], v[88:89], 2.0, -v[10:11]
	;; [unrolled: 1-line block ×11, first 2 shown]
	ds_store_2addr_b64 v207, v[2:3], v[4:5] offset1:120
	ds_store_2addr_b64 v208, v[8:9], v[24:25] offset1:120
	;; [unrolled: 1-line block ×15, first 2 shown]
	v_fma_f64 v[84:85], v[14:15], 2.0, -v[173:174]
	v_fma_f64 v[86:87], v[40:41], 2.0, -v[175:176]
	v_fma_f64 v[88:89], v[65:66], 2.0, -v[185:186]
	v_fma_f64 v[90:91], v[120:121], 2.0, -v[171:172]
	v_fma_f64 v[36:37], v[36:37], 2.0, -v[187:188]
	v_fma_f64 v[92:93], v[30:31], 2.0, -v[189:190]
	v_fma_f64 v[94:95], v[20:21], 2.0, -v[53:54]
	v_fma_f64 v[32:33], v[32:33], 2.0, -v[57:58]
	v_fma_f64 v[34:35], v[34:35], 2.0, -v[61:62]
	v_fma_f64 v[68:69], v[67:68], 2.0, -v[191:192]
	v_fma_f64 v[96:97], v[149:150], 2.0, -v[193:194]
	v_fma_f64 v[98:99], v[161:162], 2.0, -v[195:196]
	v_fma_f64 v[120:121], v[163:164], 2.0, -v[197:198]
	v_fma_f64 v[149:150], v[165:166], 2.0, -v[199:200]
	v_fma_f64 v[161:162], v[169:170], 2.0, -v[201:202]
	global_wb scope:SCOPE_SE
	s_wait_dscnt 0x0
	s_barrier_signal -1
	s_barrier_wait -1
	global_inv scope:SCOPE_SE
	ds_load_b64 v[28:29], v129
	ds_load_b64 v[30:31], v132
	;; [unrolled: 1-line block ×14, first 2 shown]
	ds_load_2addr_stride64_b64 v[2:5], v184 offset1:30
	ds_load_2addr_stride64_b64 v[64:67], v184 offset0:32 offset1:34
	ds_load_2addr_stride64_b64 v[72:75], v184 offset0:36 offset1:38
	;; [unrolled: 1-line block ×7, first 2 shown]
	global_wb scope:SCOPE_SE
	s_wait_dscnt 0x0
	s_barrier_signal -1
	s_barrier_wait -1
	global_inv scope:SCOPE_SE
	ds_store_2addr_b64 v207, v[84:85], v[173:174] offset1:120
	ds_store_2addr_b64 v208, v[86:87], v[175:176] offset1:120
	;; [unrolled: 1-line block ×15, first 2 shown]
	global_wb scope:SCOPE_SE
	s_wait_dscnt 0x0
	s_barrier_signal -1
	s_barrier_wait -1
	global_inv scope:SCOPE_SE
	global_load_b128 v[84:87], v[167:168], off offset:3680
	v_lshlrev_b64_e32 v[32:33], 4, v[0:1]
	v_lshrrev_b32_e32 v1, 23, v116
	v_lshrrev_b32_e32 v36, 23, v117
	;; [unrolled: 1-line block ×5, first 2 shown]
	v_add_co_u32 v34, s0, s4, v32
	s_wait_alu 0xf1ff
	v_add_co_ci_u32_e64 v35, s0, s5, v33, s0
	v_mul_lo_u16 v37, 0xf0, v1
	v_mul_lo_u16 v36, 0xf0, v36
	v_lshrrev_b32_e32 v63, 23, v114
	global_load_b128 v[88:91], v[34:35], off offset:3936
	v_lshrrev_b32_e32 v135, 23, v110
	v_sub_nc_u16 v37, v147, v37
	v_sub_nc_u16 v36, v145, v36
	v_cmp_lt_u32_e64 s0, 0xef, v122
	v_mul_u32_u24_e32 v1, 0xf00, v1
	s_delay_alu instid0(VALU_DEP_4) | instskip(NEXT) | instid1(VALU_DEP_4)
	v_and_b32_e32 v53, 0xffff, v37
	v_and_b32_e32 v52, 0xffff, v36
	s_delay_alu instid0(VALU_DEP_2) | instskip(NEXT) | instid1(VALU_DEP_2)
	v_lshlrev_b32_e32 v36, 4, v53
	v_lshlrev_b32_e32 v37, 4, v52
	s_clause 0x1
	global_load_b128 v[92:95], v36, s[4:5] offset:3680
	global_load_b128 v[96:99], v37, s[4:5] offset:3680
	v_lshrrev_b32_e32 v36, 23, v119
	v_mul_lo_u16 v37, 0xf0, v54
	v_lshlrev_b32_e32 v53, 3, v53
	v_mul_u32_u24_e32 v54, 0xf00, v54
	s_delay_alu instid0(VALU_DEP_4) | instskip(NEXT) | instid1(VALU_DEP_4)
	v_mul_lo_u16 v36, 0xf0, v36
	v_sub_nc_u16 v37, v143, v37
	s_delay_alu instid0(VALU_DEP_2) | instskip(NEXT) | instid1(VALU_DEP_2)
	v_sub_nc_u16 v36, v141, v36
	v_and_b32_e32 v56, 0xffff, v37
	s_delay_alu instid0(VALU_DEP_2) | instskip(NEXT) | instid1(VALU_DEP_2)
	v_and_b32_e32 v55, 0xffff, v36
	v_lshlrev_b32_e32 v36, 4, v56
	v_lshlrev_b32_e32 v56, 3, v56
	s_delay_alu instid0(VALU_DEP_3)
	v_lshlrev_b32_e32 v37, 4, v55
	s_clause 0x1
	global_load_b128 v[116:119], v36, s[4:5] offset:3680
	global_load_b128 v[149:152], v37, s[4:5] offset:3680
	v_mul_lo_u16 v36, 0xf0, v57
	v_lshrrev_b32_e32 v37, 23, v109
	v_mul_u32_u24_e32 v57, 0xf00, v57
	s_delay_alu instid0(VALU_DEP_3) | instskip(NEXT) | instid1(VALU_DEP_3)
	v_sub_nc_u16 v36, v128, v36
	v_mul_lo_u16 v37, 0xf0, v37
	s_delay_alu instid0(VALU_DEP_2) | instskip(NEXT) | instid1(VALU_DEP_2)
	v_and_b32_e32 v59, 0xffff, v36
	v_sub_nc_u16 v36, v130, v37
	s_delay_alu instid0(VALU_DEP_2) | instskip(NEXT) | instid1(VALU_DEP_2)
	v_lshlrev_b32_e32 v37, 4, v59
	v_and_b32_e32 v58, 0xffff, v36
	v_lshlrev_b32_e32 v59, 3, v59
	global_load_b128 v[153:156], v37, s[4:5] offset:3680
	v_lshlrev_b32_e32 v36, 4, v58
	v_add3_u32 v206, 0, v57, v59
	global_load_b128 v[157:160], v36, s[4:5] offset:3680
	v_mul_lo_u16 v37, 0xf0, v60
	s_delay_alu instid0(VALU_DEP_1) | instskip(SKIP_1) | instid1(VALU_DEP_2)
	v_sub_nc_u16 v36, v131, v37
	v_lshrrev_b32_e32 v37, 23, v115
	v_and_b32_e32 v61, 0xffff, v36
	s_delay_alu instid0(VALU_DEP_2) | instskip(NEXT) | instid1(VALU_DEP_2)
	v_mul_lo_u16 v36, 0xf0, v37
	v_lshlrev_b32_e32 v37, 4, v61
	s_delay_alu instid0(VALU_DEP_2) | instskip(SKIP_2) | instid1(VALU_DEP_1)
	v_sub_nc_u16 v36, v134, v36
	global_load_b128 v[161:164], v37, s[4:5] offset:3680
	v_and_b32_e32 v62, 0xffff, v36
	v_lshlrev_b32_e32 v36, 4, v62
	global_load_b128 v[165:168], v36, s[4:5] offset:3680
	v_lshrrev_b32_e32 v37, 23, v112
	v_mul_lo_u16 v36, 0xf0, v63
	v_lshrrev_b32_e32 v112, 24, v112
	s_delay_alu instid0(VALU_DEP_3) | instskip(NEXT) | instid1(VALU_DEP_3)
	v_mul_lo_u16 v37, 0xf0, v37
	v_sub_nc_u16 v36, v133, v36
	s_delay_alu instid0(VALU_DEP_3) | instskip(NEXT) | instid1(VALU_DEP_3)
	v_mul_lo_u16 v112, 0x1e0, v112
	v_sub_nc_u16 v37, v136, v37
	s_delay_alu instid0(VALU_DEP_3) | instskip(SKIP_1) | instid1(VALU_DEP_4)
	v_and_b32_e32 v137, 0xffff, v36
	v_lshrrev_b32_e32 v36, 23, v111
	v_sub_nc_u16 v112, v136, v112
	s_delay_alu instid0(VALU_DEP_4) | instskip(NEXT) | instid1(VALU_DEP_4)
	v_and_b32_e32 v139, 0xffff, v37
	v_lshlrev_b32_e32 v68, 4, v137
	v_mul_lo_u16 v37, 0xf0, v135
	v_mul_lo_u16 v36, 0xf0, v36
	v_mul_u32_u24_e32 v135, 0xf00, v135
	v_lshlrev_b32_e32 v69, 4, v139
	s_clause 0x1
	global_load_b128 v[169:172], v68, s[4:5] offset:3680
	global_load_b128 v[173:176], v69, s[4:5] offset:3680
	v_sub_nc_u16 v37, v138, v37
	v_sub_nc_u16 v36, v140, v36
	global_load_b128 v[185:188], v[34:35], off offset:3680
	v_lshlrev_b32_e32 v137, 3, v137
	v_lshl_add_u32 v139, v139, 3, 0
	v_and_b32_e32 v203, 0xffff, v37
	v_and_b32_e32 v204, 0xffff, v36
	s_delay_alu instid0(VALU_DEP_3) | instskip(NEXT) | instid1(VALU_DEP_3)
	v_add_nc_u32_e32 v139, 0x5a00, v139
	v_lshlrev_b32_e32 v36, 4, v203
	s_delay_alu instid0(VALU_DEP_3)
	v_lshlrev_b32_e32 v37, 4, v204
	s_clause 0x1
	global_load_b128 v[189:192], v36, s[4:5] offset:3680
	global_load_b128 v[193:196], v37, s[4:5] offset:3680
	ds_load_2addr_stride64_b64 v[197:200], v184 offset0:32 offset1:34
	s_wait_loadcnt_dscnt 0xe00
	v_mul_f64_e32 v[36:37], v[197:198], v[86:87]
	v_mul_f64_e32 v[68:69], v[64:65], v[86:87]
	s_wait_loadcnt 0xd
	v_mul_f64_e32 v[120:121], v[199:200], v[90:91]
	v_mul_f64_e32 v[90:91], v[66:67], v[90:91]
	s_delay_alu instid0(VALU_DEP_4) | instskip(NEXT) | instid1(VALU_DEP_4)
	v_fma_f64 v[201:202], v[64:65], v[84:85], v[36:37]
	v_fma_f64 v[68:69], v[197:198], v[84:85], -v[68:69]
	ds_load_2addr_stride64_b64 v[84:87], v184 offset0:36 offset1:38
	v_fma_f64 v[120:121], v[66:67], v[88:89], v[120:121]
	v_fma_f64 v[88:89], v[199:200], v[88:89], -v[90:91]
	ds_load_2addr_stride64_b64 v[64:67], v184 offset0:40 offset1:42
	s_wait_loadcnt_dscnt 0xc01
	v_mul_f64_e32 v[36:37], v[84:85], v[94:95]
	v_mul_f64_e32 v[94:95], v[72:73], v[94:95]
	s_wait_loadcnt 0xb
	v_mul_f64_e32 v[90:91], v[86:87], v[98:99]
	v_mul_f64_e32 v[98:99], v[74:75], v[98:99]
	v_add_f64_e64 v[120:121], v[30:31], -v[120:121]
	v_fma_f64 v[197:198], v[72:73], v[92:93], v[36:37]
	s_wait_loadcnt_dscnt 0xa00
	v_mul_f64_e32 v[36:37], v[64:65], v[118:119]
	v_fma_f64 v[92:93], v[84:85], v[92:93], -v[94:95]
	v_mul_f64_e32 v[84:85], v[76:77], v[118:119]
	v_fma_f64 v[90:91], v[74:75], v[96:97], v[90:91]
	ds_load_2addr_stride64_b64 v[72:75], v184 offset0:44 offset1:46
	s_wait_loadcnt 0x9
	v_mul_f64_e32 v[94:95], v[66:67], v[151:152]
	v_fma_f64 v[96:97], v[86:87], v[96:97], -v[98:99]
	v_mul_f64_e32 v[98:99], v[78:79], v[151:152]
	s_wait_loadcnt 0x8
	v_mul_f64_e32 v[151:152], v[80:81], v[155:156]
	s_wait_dscnt 0x0
	v_mul_f64_e32 v[118:119], v[72:73], v[155:156]
	s_wait_loadcnt 0x7
	v_mul_f64_e32 v[155:156], v[82:83], v[159:160]
	v_fma_f64 v[30:31], v[30:31], 2.0, -v[120:121]
	v_fma_f64 v[76:77], v[76:77], v[116:117], v[36:37]
	v_mul_f64_e32 v[36:37], v[74:75], v[159:160]
	v_fma_f64 v[116:117], v[64:65], v[116:117], -v[84:85]
	ds_load_2addr_stride64_b64 v[84:87], v184 offset0:48 offset1:50
	s_wait_loadcnt 0x6
	v_mul_f64_e32 v[159:160], v[14:15], v[163:164]
	v_fma_f64 v[94:95], v[78:79], v[149:150], v[94:95]
	v_add_f64_e64 v[90:91], v[48:49], -v[90:91]
	v_fma_f64 v[98:99], v[66:67], v[149:150], -v[98:99]
	ds_load_2addr_stride64_b64 v[64:67], v184 offset0:52 offset1:54
	v_fma_f64 v[151:152], v[72:73], v[153:154], -v[151:152]
	v_lshl_add_u32 v78, v0, 3, 0
	v_add_nc_u32_e32 v0, 0xffffffa0, v0
	s_delay_alu instid0(VALU_DEP_2)
	v_add_nc_u32_e32 v205, 0xf80, v78
	s_wait_dscnt 0x1
	v_mul_f64_e32 v[149:150], v[84:85], v[163:164]
	s_wait_loadcnt 0x5
	v_mul_f64_e32 v[163:164], v[86:87], v[167:168]
	v_fma_f64 v[118:119], v[80:81], v[153:154], v[118:119]
	v_fma_f64 v[155:156], v[74:75], v[157:158], -v[155:156]
	ds_load_2addr_stride64_b64 v[72:75], v184 offset0:56 offset1:58
	v_add_f64_e64 v[76:77], v[18:19], -v[76:77]
	v_fma_f64 v[153:154], v[82:83], v[157:158], v[36:37]
	v_mul_f64_e32 v[36:37], v[16:17], v[167:168]
	ds_load_2addr_stride64_b64 v[79:82], v184 offset1:30
	s_wait_loadcnt_dscnt 0x402
	v_mul_f64_e32 v[157:158], v[64:65], v[171:172]
	s_wait_loadcnt 0x3
	v_mul_f64_e32 v[167:168], v[66:67], v[175:176]
	v_fma_f64 v[83:84], v[84:85], v[161:162], -v[159:160]
	v_mul_f64_e32 v[171:172], v[10:11], v[171:172]
	v_add_f64_e64 v[94:95], v[20:21], -v[94:95]
	s_wait_loadcnt_dscnt 0x101
	v_mul_f64_e32 v[159:160], v[72:73], v[191:192]
	v_fma_f64 v[48:49], v[48:49], 2.0, -v[90:91]
	v_fma_f64 v[14:15], v[14:15], v[161:162], v[149:150]
	s_wait_dscnt 0x0
	v_mul_f64_e32 v[149:150], v[81:82], v[187:188]
	v_fma_f64 v[16:17], v[16:17], v[165:166], v[163:164]
	s_wait_loadcnt 0x0
	v_mul_f64_e32 v[161:162], v[74:75], v[195:196]
	v_lshlrev_b64_e32 v[163:164], 4, v[122:123]
	s_wait_alu 0xf1ff
	v_cndmask_b32_e64 v123, 0, 0xf00, s0
	v_add_f64_e64 v[118:119], v[22:23], -v[118:119]
	s_delay_alu instid0(VALU_DEP_2)
	v_add3_u32 v70, 0, v123, v70
	v_mul_u32_u24_e32 v123, 0xf00, v63
	v_fma_f64 v[18:19], v[18:19], 2.0, -v[76:77]
	v_add_f64_e64 v[153:154], v[24:25], -v[153:154]
	v_fma_f64 v[85:86], v[86:87], v[165:166], -v[36:37]
	v_mul_f64_e32 v[165:166], v[4:5], v[187:188]
	v_add_co_u32 v36, s0, s4, v163
	s_wait_alu 0xf1ff
	v_add_co_ci_u32_e64 v37, s0, s5, v164, s0
	v_mul_f64_e32 v[163:164], v[12:13], v[175:176]
	v_fma_f64 v[10:11], v[10:11], v[169:170], v[157:158]
	v_mul_f64_e32 v[157:158], v[6:7], v[191:192]
	v_fma_f64 v[12:13], v[12:13], v[173:174], v[167:168]
	v_mul_f64_e32 v[167:168], v[8:9], v[195:196]
	v_lshl_add_u32 v175, v52, 3, 0
	v_lshlrev_b32_e32 v188, 3, v203
	v_add3_u32 v203, 0, v1, v53
	v_fma_f64 v[6:7], v[6:7], v[189:190], v[159:160]
	v_mul_u32_u24_e32 v87, 0xf00, v60
	v_lshlrev_b32_e32 v187, 3, v61
	v_fma_f64 v[60:61], v[64:65], v[169:170], -v[171:172]
	v_lshl_add_u32 v176, v55, 3, 0
	v_lshl_add_u32 v191, v58, 3, 0
	;; [unrolled: 1-line block ×3, first 2 shown]
	v_add3_u32 v204, 0, v54, v56
	v_fma_f64 v[4:5], v[4:5], v[185:186], v[149:150]
	ds_load_b64 v[54:55], v129
	ds_load_b64 v[56:57], v132
	;; [unrolled: 1-line block ×3, first 2 shown]
	v_fma_f64 v[8:9], v[8:9], v[193:194], v[161:162]
	v_lshl_add_u32 v192, v62, 3, 0
	v_add_f64_e64 v[14:15], v[26:27], -v[14:15]
	v_add_f64_e64 v[16:17], v[38:39], -v[16:17]
	v_add3_u32 v207, 0, v87, v187
	v_add3_u32 v135, 0, v135, v188
	v_fma_f64 v[20:21], v[20:21], 2.0, -v[94:95]
	v_fma_f64 v[22:23], v[22:23], 2.0, -v[118:119]
	v_add3_u32 v123, 0, v123, v137
	v_add_nc_u32_e32 v137, 0x4b00, v192
	v_add_nc_u32_e32 v208, 0x6900, v195
	v_fma_f64 v[24:25], v[24:25], 2.0, -v[153:154]
	v_fma_f64 v[52:53], v[81:82], v[185:186], -v[165:166]
	ds_load_b64 v[62:63], v100
	ds_load_b64 v[64:65], v101
	;; [unrolled: 1-line block ×4, first 2 shown]
	v_add_f64_e64 v[165:166], v[50:51], -v[197:198]
	s_wait_dscnt 0x6
	v_add_f64_e64 v[185:186], v[54:55], -v[68:69]
	s_wait_dscnt 0x5
	v_add_f64_e64 v[87:88], v[56:57], -v[88:89]
	v_fma_f64 v[66:67], v[66:67], v[173:174], -v[163:164]
	ds_load_b64 v[159:160], v183
	ds_load_b64 v[161:162], v182
	;; [unrolled: 1-line block ×3, first 2 shown]
	v_fma_f64 v[72:73], v[72:73], v[189:190], -v[157:158]
	v_add_f64_e64 v[157:158], v[28:29], -v[201:202]
	v_fma_f64 v[74:75], v[74:75], v[193:194], -v[167:168]
	ds_load_b64 v[167:168], v102
	ds_load_b64 v[169:170], v104
	;; [unrolled: 1-line block ×4, first 2 shown]
	v_add_f64_e64 v[10:11], v[40:41], -v[10:11]
	v_add_nc_u32_e32 v201, 0x1e00, v175
	v_add_nc_u32_e32 v202, 0x2d00, v176
	v_add_f64_e64 v[12:13], v[42:43], -v[12:13]
	v_add_f64_e64 v[6:7], v[44:45], -v[6:7]
	s_wait_dscnt 0xb
	v_add_f64_e64 v[116:117], v[58:59], -v[116:117]
	v_add_nc_u32_e32 v89, 0x3c00, v191
	s_wait_dscnt 0xa
	v_add_f64_e64 v[98:99], v[62:63], -v[98:99]
	s_wait_dscnt 0x9
	v_add_f64_e64 v[151:152], v[64:65], -v[151:152]
	;; [unrolled: 2-line block ×3, first 2 shown]
	v_add_f64_e64 v[4:5], v[2:3], -v[4:5]
	s_wait_dscnt 0x7
	v_add_f64_e64 v[83:84], v[149:150], -v[83:84]
	v_add_f64_e64 v[8:9], v[46:47], -v[8:9]
	s_wait_dscnt 0x6
	v_add_f64_e64 v[96:97], v[159:160], -v[96:97]
	s_wait_dscnt 0x5
	;; [unrolled: 2-line block ×4, first 2 shown]
	v_add_f64_e64 v[187:188], v[167:168], -v[60:61]
	v_fma_f64 v[26:27], v[26:27], 2.0, -v[14:15]
	v_fma_f64 v[38:39], v[38:39], 2.0, -v[16:17]
	global_wb scope:SCOPE_SE
	s_wait_dscnt 0x0
	s_barrier_signal -1
	s_barrier_wait -1
	global_inv scope:SCOPE_SE
	v_add_f64_e64 v[175:176], v[79:80], -v[52:53]
	v_fma_f64 v[50:51], v[50:51], 2.0, -v[165:166]
	v_fma_f64 v[191:192], v[54:55], 2.0, -v[185:186]
	;; [unrolled: 1-line block ×3, first 2 shown]
	v_add_f64_e64 v[189:190], v[169:170], -v[66:67]
	v_add_f64_e64 v[72:73], v[171:172], -v[72:73]
	v_fma_f64 v[28:29], v[28:29], 2.0, -v[157:158]
	v_add_f64_e64 v[74:75], v[173:174], -v[74:75]
	v_fma_f64 v[40:41], v[40:41], 2.0, -v[10:11]
	v_fma_f64 v[42:43], v[42:43], 2.0, -v[12:13]
	;; [unrolled: 1-line block ×14, first 2 shown]
	ds_store_2addr_b64 v184, v[1:2], v[4:5] offset1:240
	ds_store_2addr_b64 v70, v[28:29], v[157:158] offset1:240
	;; [unrolled: 1-line block ×15, first 2 shown]
	v_fma_f64 v[79:80], v[79:80], 2.0, -v[175:176]
	v_fma_f64 v[169:170], v[169:170], 2.0, -v[189:190]
	;; [unrolled: 1-line block ×4, first 2 shown]
	v_lshlrev_b64_e32 v[38:39], 4, v[124:125]
	global_wb scope:SCOPE_SE
	s_wait_dscnt 0x0
	s_barrier_signal -1
	s_barrier_wait -1
	global_inv scope:SCOPE_SE
	ds_load_b64 v[40:41], v129
	ds_load_b64 v[29:30], v132
	;; [unrolled: 1-line block ×14, first 2 shown]
	ds_load_2addr_stride64_b64 v[1:4], v184 offset1:30
	ds_load_2addr_stride64_b64 v[46:49], v184 offset0:32 offset1:34
	ds_load_2addr_stride64_b64 v[50:53], v184 offset0:36 offset1:38
	;; [unrolled: 1-line block ×7, first 2 shown]
	v_add_co_u32 v38, s0, s4, v38
	s_wait_alu 0xf1ff
	v_add_co_ci_u32_e64 v39, s0, s5, v39, s0
	v_cmp_gt_u32_e64 s0, 0x1e0, v147
	global_wb scope:SCOPE_SE
	s_wait_dscnt 0x0
	s_barrier_signal -1
	s_barrier_wait -1
	global_inv scope:SCOPE_SE
	ds_store_2addr_b64 v184, v[79:80], v[175:176] offset1:240
	ds_store_2addr_b64 v70, v[191:192], v[185:186] offset1:240
	;; [unrolled: 1-line block ×15, first 2 shown]
	global_wb scope:SCOPE_SE
	s_wait_dscnt 0x0
	s_barrier_signal -1
	s_barrier_wait -1
	global_inv scope:SCOPE_SE
	s_clause 0x1
	global_load_b128 v[72:75], v[36:37], off offset:7520
	global_load_b128 v[79:82], v[38:39], off offset:7520
	s_wait_alu 0xf1ff
	v_cndmask_b32_e64 v70, v0, v147, s0
	v_lshrrev_b32_e32 v0, 24, v108
	v_lshrrev_b32_e32 v99, 24, v115
	;; [unrolled: 1-line block ×4, first 2 shown]
	v_lshlrev_b64_e32 v[76:77], 4, v[70:71]
	v_mul_lo_u16 v31, 0x1e0, v0
	v_mul_lo_u16 v99, 0x1e0, v99
	v_lshrrev_b32_e32 v121, 24, v111
	v_and_b32_e32 v139, 0xffff, v112
	v_lshlrev_b32_e32 v70, 3, v70
	v_add_co_u32 v76, s0, s4, v76
	s_wait_alu 0xf1ff
	v_add_co_ci_u32_e64 v77, s0, s5, v77, s0
	s_clause 0x3
	global_load_b128 v[83:86], v[76:77], off offset:7520
	global_load_b128 v[87:90], v[34:35], off offset:8032
	;; [unrolled: 1-line block ×4, first 2 shown]
	v_lshrrev_b32_e32 v76, 24, v109
	v_lshrrev_b32_e32 v77, 24, v113
	v_sub_nc_u16 v31, v128, v31
	v_mul_lo_u16 v113, 0x1e0, v123
	v_sub_nc_u16 v99, v134, v99
	v_mul_lo_u16 v76, 0x1e0, v76
	v_mul_lo_u16 v77, 0x1e0, v77
	v_and_b32_e32 v31, 0xffff, v31
	v_lshlrev_b32_e32 v157, 4, v139
	v_and_b32_e32 v99, 0xffff, v99
	v_sub_nc_u16 v76, v130, v76
	v_sub_nc_u16 v77, v131, v77
	v_lshlrev_b32_e32 v108, 4, v31
	v_cmp_lt_u32_e64 s0, 0x1df, v147
	v_lshlrev_b32_e32 v149, 4, v99
	v_and_b32_e32 v125, 0xffff, v76
	v_sub_nc_u16 v76, v133, v113
	v_and_b32_e32 v135, 0xffff, v77
	global_load_b128 v[108:111], v108, s[4:5] offset:7520
	v_lshlrev_b32_e32 v31, 3, v31
	v_lshlrev_b32_e32 v77, 4, v125
	v_and_b32_e32 v137, 0xffff, v76
	v_lshlrev_b32_e32 v76, 4, v135
	v_mul_u32_u24_e32 v123, 0x1e00, v123
	v_lshl_add_u32 v125, v125, 3, 0
	global_load_b128 v[112:115], v77, s[4:5] offset:7520
	v_lshlrev_b32_e32 v77, 4, v137
	s_clause 0x4
	global_load_b128 v[116:119], v76, s[4:5] offset:7520
	global_load_b128 v[149:152], v149, s[4:5] offset:7520
	;; [unrolled: 1-line block ×4, first 2 shown]
	global_load_b128 v[161:164], v[34:35], off offset:7520
	v_mul_lo_u16 v76, 0x1e0, v120
	v_mul_lo_u16 v120, 0x1e0, v121
	v_lshlrev_b32_e32 v137, 3, v137
	v_lshl_add_u32 v135, v135, 3, 0
	v_lshl_add_u32 v99, v99, 3, 0
	v_sub_nc_u16 v76, v138, v76
	v_sub_nc_u16 v77, v140, v120
	v_lshl_add_u32 v139, v139, 3, 0
	v_add3_u32 v123, 0, v123, v137
	s_delay_alu instid0(VALU_DEP_4) | instskip(NEXT) | instid1(VALU_DEP_4)
	v_and_b32_e32 v199, 0xffff, v76
	v_and_b32_e32 v200, 0xffff, v77
	s_delay_alu instid0(VALU_DEP_2) | instskip(NEXT) | instid1(VALU_DEP_2)
	v_lshlrev_b32_e32 v76, 4, v199
	v_lshlrev_b32_e32 v77, 4, v200
	s_clause 0x1
	global_load_b128 v[165:168], v76, s[4:5] offset:7520
	global_load_b128 v[169:172], v77, s[4:5] offset:7520
	ds_load_2addr_stride64_b64 v[173:176], v184 offset0:32 offset1:34
	ds_load_2addr_stride64_b64 v[185:188], v184 offset0:40 offset1:42
	v_lshl_add_u32 v199, v199, 3, 0
	v_lshl_add_u32 v200, v200, 3, 0
	s_wait_loadcnt_dscnt 0xe01
	v_mul_f64_e32 v[120:121], v[173:174], v[74:75]
	v_mul_f64_e32 v[189:190], v[46:47], v[74:75]
	ds_load_2addr_stride64_b64 v[74:77], v184 offset0:36 offset1:38
	s_wait_loadcnt 0xd
	v_mul_f64_e32 v[191:192], v[175:176], v[81:82]
	v_mul_f64_e32 v[81:82], v[48:49], v[81:82]
	s_wait_loadcnt_dscnt 0xc00
	v_mul_f64_e32 v[193:194], v[74:75], v[85:86]
	v_mul_f64_e32 v[85:86], v[50:51], v[85:86]
	s_wait_loadcnt 0xb
	v_mul_f64_e32 v[195:196], v[76:77], v[89:90]
	v_mul_f64_e32 v[89:90], v[52:53], v[89:90]
	s_wait_loadcnt 0x9
	v_mul_f64_e32 v[197:198], v[187:188], v[97:98]
	v_mul_f64_e32 v[97:98], v[56:57], v[97:98]
	v_fma_f64 v[120:121], v[46:47], v[72:73], v[120:121]
	v_fma_f64 v[173:174], v[173:174], v[72:73], -v[189:190]
	v_mul_f64_e32 v[189:190], v[185:186], v[93:94]
	v_mul_f64_e32 v[93:94], v[54:55], v[93:94]
	v_fma_f64 v[191:192], v[48:49], v[79:80], v[191:192]
	ds_load_2addr_stride64_b64 v[46:49], v184 offset0:44 offset1:46
	v_fma_f64 v[175:176], v[175:176], v[79:80], -v[81:82]
	ds_load_2addr_stride64_b64 v[79:82], v184 offset1:30
	v_fma_f64 v[193:194], v[50:51], v[83:84], v[193:194]
	v_fma_f64 v[83:84], v[74:75], v[83:84], -v[85:86]
	ds_load_2addr_stride64_b64 v[72:75], v184 offset0:48 offset1:50
	v_fma_f64 v[85:86], v[52:53], v[87:88], v[195:196]
	ds_load_2addr_stride64_b64 v[50:53], v184 offset0:52 offset1:54
	v_fma_f64 v[76:77], v[76:77], v[87:88], -v[89:90]
	s_wait_loadcnt 0x8
	v_mul_f64_e32 v[87:88], v[58:59], v[110:111]
	s_wait_dscnt 0x3
	v_mul_f64_e32 v[195:196], v[46:47], v[110:111]
	s_wait_loadcnt 0x7
	v_mul_f64_e32 v[89:90], v[48:49], v[114:115]
	v_fma_f64 v[110:111], v[54:55], v[91:92], v[189:190]
	v_fma_f64 v[91:92], v[185:186], v[91:92], -v[93:94]
	v_fma_f64 v[189:190], v[56:57], v[95:96], v[197:198]
	v_fma_f64 v[95:96], v[187:188], v[95:96], -v[97:98]
	s_wait_loadcnt_dscnt 0x601
	v_mul_f64_e32 v[93:94], v[72:73], v[118:119]
	s_wait_loadcnt 0x5
	v_mul_f64_e32 v[185:186], v[74:75], v[151:152]
	s_wait_loadcnt_dscnt 0x400
	v_mul_f64_e32 v[97:98], v[50:51], v[155:156]
	s_wait_loadcnt 0x3
	v_mul_f64_e32 v[187:188], v[52:53], v[159:160]
	s_wait_loadcnt 0x2
	v_mul_f64_e32 v[197:198], v[81:82], v[163:164]
	ds_load_2addr_stride64_b64 v[54:57], v184 offset0:56 offset1:58
	v_mul_f64_e32 v[163:164], v[3:4], v[163:164]
	v_add_f64_e64 v[85:86], v[42:43], -v[85:86]
	v_fma_f64 v[46:47], v[46:47], v[108:109], -v[87:88]
	v_fma_f64 v[58:59], v[58:59], v[108:109], v[195:196]
	v_fma_f64 v[89:90], v[60:61], v[112:113], v[89:90]
	s_wait_loadcnt_dscnt 0x100
	v_mul_f64_e32 v[87:88], v[54:55], v[167:168]
	s_wait_loadcnt 0x0
	v_mul_f64_e32 v[108:109], v[56:57], v[171:172]
	v_mul_f64_e32 v[60:61], v[60:61], v[114:115]
	;; [unrolled: 1-line block ×5, first 2 shown]
	v_mul_u32_u24_e32 v195, 0x1e00, v0
	v_add_f64_e64 v[110:111], v[25:26], -v[110:111]
	s_delay_alu instid0(VALU_DEP_2)
	v_add3_u32 v201, 0, v195, v31
	v_fma_f64 v[62:63], v[62:63], v[116:117], v[93:94]
	v_fma_f64 v[93:94], v[64:65], v[149:150], v[185:186]
	v_mul_f64_e32 v[64:65], v[64:65], v[151:152]
	v_fma_f64 v[66:67], v[66:67], v[153:154], v[97:98]
	v_fma_f64 v[97:98], v[68:69], v[157:158], v[187:188]
	v_mul_f64_e32 v[68:69], v[68:69], v[159:160]
	v_mul_f64_e32 v[151:152], v[5:6], v[167:168]
	v_fma_f64 v[3:4], v[3:4], v[161:162], v[197:198]
	v_fma_f64 v[81:82], v[81:82], v[161:162], -v[163:164]
	s_wait_alu 0xf1ff
	v_cndmask_b32_e64 v159, 0, 0x1e00, s0
	v_add_nc_u32_e32 v197, 0x100, v78
	v_add_nc_u32_e32 v198, 0x2700, v78
	s_delay_alu instid0(VALU_DEP_3)
	v_add3_u32 v70, 0, v159, v70
	v_fma_f64 v[42:43], v[42:43], 2.0, -v[85:86]
	v_add_f64_e64 v[58:59], v[23:24], -v[58:59]
	v_add_f64_e64 v[89:90], v[19:20], -v[89:90]
	v_fma_f64 v[5:6], v[5:6], v[165:166], v[87:88]
	v_fma_f64 v[7:8], v[7:8], v[169:170], v[108:109]
	v_fma_f64 v[48:49], v[48:49], v[112:113], -v[60:61]
	v_fma_f64 v[72:73], v[72:73], v[116:117], -v[114:115]
	;; [unrolled: 1-line block ×3, first 2 shown]
	ds_load_b64 v[60:61], v129
	ds_load_b64 v[87:88], v132
	;; [unrolled: 1-line block ×7, first 2 shown]
	v_fma_f64 v[56:57], v[56:57], v[169:170], -v[155:156]
	v_add_f64_e64 v[153:154], v[27:28], -v[189:190]
	v_fma_f64 v[25:26], v[25:26], 2.0, -v[110:111]
	v_add_f64_e64 v[62:63], v[15:16], -v[62:63]
	v_add_f64_e64 v[93:94], v[21:22], -v[93:94]
	v_fma_f64 v[64:65], v[74:75], v[149:150], -v[64:65]
	v_add_f64_e64 v[74:75], v[29:30], -v[191:192]
	v_add_f64_e64 v[66:67], v[17:18], -v[66:67]
	v_fma_f64 v[52:53], v[52:53], v[157:158], -v[68:69]
	v_fma_f64 v[54:55], v[54:55], v[165:166], -v[151:152]
	v_add_f64_e64 v[3:4], v[1:2], -v[3:4]
	v_add_f64_e64 v[68:69], v[40:41], -v[120:121]
	ds_load_b64 v[118:119], v183
	ds_load_b64 v[120:121], v182
	;; [unrolled: 1-line block ×3, first 2 shown]
	v_add_f64_e64 v[151:152], v[44:45], -v[193:194]
	v_add_f64_e64 v[165:166], v[79:80], -v[81:82]
	ds_load_b64 v[155:156], v102
	ds_load_b64 v[157:158], v104
	;; [unrolled: 1-line block ×4, first 2 shown]
	s_wait_dscnt 0xd
	v_add_f64_e64 v[167:168], v[60:61], -v[173:174]
	s_wait_dscnt 0xc
	v_add_f64_e64 v[169:170], v[87:88], -v[175:176]
	v_add_f64_e64 v[97:98], v[13:14], -v[97:98]
	s_wait_dscnt 0xb
	v_add_f64_e64 v[91:92], v[108:109], -v[91:92]
	s_wait_dscnt 0xa
	;; [unrolled: 2-line block ×3, first 2 shown]
	v_add_f64_e64 v[46:47], v[114:115], -v[46:47]
	global_wb scope:SCOPE_SE
	s_wait_dscnt 0x0
	s_barrier_signal -1
	s_barrier_wait -1
	global_inv scope:SCOPE_SE
	v_fma_f64 v[23:24], v[23:24], 2.0, -v[58:59]
	v_fma_f64 v[19:20], v[19:20], 2.0, -v[89:90]
	v_add_f64_e64 v[5:6], v[9:10], -v[5:6]
	v_add_f64_e64 v[7:8], v[11:12], -v[7:8]
	;; [unrolled: 1-line block ×8, first 2 shown]
	v_fma_f64 v[27:28], v[27:28], 2.0, -v[153:154]
	v_fma_f64 v[15:16], v[15:16], 2.0, -v[62:63]
	;; [unrolled: 1-line block ×3, first 2 shown]
	v_add_f64_e64 v[175:176], v[149:150], -v[64:65]
	v_fma_f64 v[29:30], v[29:30], 2.0, -v[74:75]
	v_fma_f64 v[17:18], v[17:18], 2.0, -v[66:67]
	v_add_f64_e64 v[187:188], v[157:158], -v[52:53]
	v_add_f64_e64 v[189:190], v[161:162], -v[54:55]
	v_fma_f64 v[0:1], v[1:2], 2.0, -v[3:4]
	v_fma_f64 v[40:41], v[40:41], 2.0, -v[68:69]
	;; [unrolled: 1-line block ×17, first 2 shown]
	ds_store_b64 v184, v[3:4] offset:3840
	ds_store_b64 v184, v[0:1]
	ds_store_b64 v129, v[40:41]
	ds_store_b64 v129, v[68:69] offset:3840
	ds_store_b64 v132, v[29:30]
	ds_store_b64 v132, v[74:75] offset:3840
	ds_store_b64 v70, v[44:45]
	ds_store_b64 v70, v[151:152] offset:3840
	ds_store_2addr_stride64_b64 v197, v[42:43], v[25:26] offset0:15 offset1:17
	ds_store_2addr_b64 v198, v[27:28], v[85:86] offset1:224
	ds_store_2addr_stride64_b64 v78, v[110:111], v[153:154] offset0:25 offset1:27
	ds_store_b64 v201, v[23:24]
	ds_store_b64 v201, v[58:59] offset:3840
	ds_store_b64 v125, v[19:20] offset:15360
	;; [unrolled: 1-line block ×7, first 2 shown]
	ds_store_b64 v123, v[17:18]
	ds_store_b64 v123, v[66:67] offset:3840
	ds_store_b64 v139, v[13:14] offset:23040
	;; [unrolled: 1-line block ×7, first 2 shown]
	v_fma_f64 v[149:150], v[149:150], 2.0, -v[175:176]
	v_fma_f64 v[157:158], v[157:158], 2.0, -v[187:188]
	;; [unrolled: 1-line block ×3, first 2 shown]
	v_lshlrev_b64_e32 v[40:41], 4, v[147:148]
	v_fma_f64 v[163:164], v[163:164], 2.0, -v[191:192]
	v_lshlrev_b64_e32 v[44:45], 4, v[145:146]
	global_wb scope:SCOPE_SE
	s_wait_dscnt 0x0
	s_barrier_signal -1
	s_barrier_wait -1
	v_add_co_u32 v42, s0, s4, v40
	s_wait_alu 0xf1ff
	v_add_co_ci_u32_e64 v43, s0, s5, v41, s0
	v_add_co_u32 v44, s0, s4, v44
	s_wait_alu 0xf1ff
	v_add_co_ci_u32_e64 v45, s0, s5, v45, s0
	global_inv scope:SCOPE_SE
	ds_load_2addr_stride64_b64 v[0:3], v184 offset1:30
	ds_load_2addr_stride64_b64 v[48:51], v184 offset0:32 offset1:34
	ds_load_b64 v[14:15], v129
	ds_load_b64 v[16:17], v132
	;; [unrolled: 1-line block ×14, first 2 shown]
	ds_load_2addr_stride64_b64 v[52:55], v184 offset0:36 offset1:38
	ds_load_2addr_stride64_b64 v[56:59], v184 offset0:40 offset1:42
	;; [unrolled: 1-line block ×6, first 2 shown]
	global_wb scope:SCOPE_SE
	s_wait_dscnt 0x0
	s_barrier_signal -1
	s_barrier_wait -1
	global_inv scope:SCOPE_SE
	ds_store_b64 v184, v[193:194]
	ds_store_b64 v184, v[165:166] offset:3840
	ds_store_b64 v129, v[195:196]
	ds_store_b64 v129, v[167:168] offset:3840
	;; [unrolled: 2-line block ×4, first 2 shown]
	ds_store_2addr_stride64_b64 v197, v[118:119], v[108:109] offset0:15 offset1:17
	ds_store_2addr_b64 v198, v[112:113], v[76:77] offset1:224
	ds_store_2addr_stride64_b64 v78, v[91:92], v[95:96] offset0:25 offset1:27
	ds_store_b64 v201, v[114:115]
	ds_store_b64 v201, v[46:47] offset:3840
	ds_store_b64 v125, v[116:117] offset:15360
	;; [unrolled: 1-line block ×7, first 2 shown]
	ds_store_b64 v123, v[155:156]
	ds_store_b64 v123, v[185:186] offset:3840
	ds_store_b64 v139, v[157:158] offset:23040
	;; [unrolled: 1-line block ×7, first 2 shown]
	global_wb scope:SCOPE_SE
	s_wait_dscnt 0x0
	s_barrier_signal -1
	s_barrier_wait -1
	global_inv scope:SCOPE_SE
	s_clause 0x3
	global_load_b128 v[83:86], v[36:37], off offset:15200
	global_load_b128 v[87:90], v[38:39], off offset:15200
	;; [unrolled: 1-line block ×4, first 2 shown]
	v_lshlrev_b64_e32 v[40:41], 4, v[143:144]
	s_delay_alu instid0(VALU_DEP_1) | instskip(SKIP_1) | instid1(VALU_DEP_2)
	v_add_co_u32 v46, s0, s4, v40
	s_wait_alu 0xf1ff
	v_add_co_ci_u32_e64 v47, s0, s5, v41, s0
	v_add_nc_u32_e32 v40, 0xfffffc40, v128
	v_cmp_gt_u32_e64 s0, 0x3c0, v128
	global_load_b128 v[108:111], v[46:47], off offset:15200
	s_wait_alu 0xf1ff
	v_cndmask_b32_e64 v70, v40, v128, s0
	v_lshlrev_b64_e32 v[40:41], 4, v[141:142]
	s_delay_alu instid0(VALU_DEP_2) | instskip(SKIP_1) | instid1(VALU_DEP_3)
	v_lshlrev_b64_e32 v[68:69], 4, v[70:71]
	v_lshlrev_b32_e32 v70, 3, v70
	v_add_co_u32 v40, s0, s4, v40
	s_wait_alu 0xf1ff
	s_delay_alu instid0(VALU_DEP_4) | instskip(NEXT) | instid1(VALU_DEP_4)
	v_add_co_ci_u32_e64 v41, s0, s5, v41, s0
	v_add_co_u32 v68, s0, s4, v68
	s_wait_alu 0xf1ff
	v_add_co_ci_u32_e64 v69, s0, s5, v69, s0
	s_clause 0x9
	global_load_b128 v[112:115], v[40:41], off offset:15200
	global_load_b128 v[116:119], v[68:69], off offset:15200
	;; [unrolled: 1-line block ×10, first 2 shown]
	ds_load_2addr_stride64_b64 v[173:176], v184 offset0:32 offset1:34
	ds_load_2addr_stride64_b64 v[185:188], v184 offset0:36 offset1:38
	;; [unrolled: 1-line block ×4, first 2 shown]
	v_cmp_lt_u32_e64 s0, 0x3bf, v128
	s_wait_alu 0xf1ff
	s_delay_alu instid0(VALU_DEP_1) | instskip(NEXT) | instid1(VALU_DEP_1)
	v_cndmask_b32_e64 v99, 0, 0x3c00, s0
	v_add3_u32 v70, 0, v99, v70
	s_wait_loadcnt_dscnt 0xe03
	v_mul_f64_e32 v[68:69], v[173:174], v[85:86]
	s_wait_loadcnt_dscnt 0xc02
	v_mul_f64_e32 v[197:198], v[185:186], v[93:94]
	s_wait_loadcnt 0xb
	v_mul_f64_e32 v[199:200], v[187:188], v[97:98]
	v_mul_f64_e32 v[76:77], v[48:49], v[85:86]
	;; [unrolled: 1-line block ×6, first 2 shown]
	s_wait_loadcnt_dscnt 0xa01
	v_mul_f64_e32 v[201:202], v[189:190], v[110:111]
	v_mul_f64_e32 v[110:111], v[56:57], v[110:111]
	s_wait_loadcnt_dscnt 0x800
	v_mul_f64_e32 v[203:204], v[193:194], v[118:119]
	v_fma_f64 v[68:69], v[48:49], v[83:84], v[68:69]
	v_fma_f64 v[197:198], v[52:53], v[91:92], v[197:198]
	;; [unrolled: 1-line block ×3, first 2 shown]
	ds_load_2addr_stride64_b64 v[52:55], v184 offset1:30
	v_fma_f64 v[76:77], v[173:174], v[83:84], -v[76:77]
	ds_load_2addr_stride64_b64 v[83:86], v184 offset0:48 offset1:50
	v_fma_f64 v[120:121], v[50:51], v[87:88], v[120:121]
	ds_load_2addr_stride64_b64 v[48:51], v184 offset0:52 offset1:54
	v_fma_f64 v[173:174], v[175:176], v[87:88], -v[89:90]
	ds_load_2addr_stride64_b64 v[87:90], v184 offset0:56 offset1:58
	v_mul_f64_e32 v[175:176], v[191:192], v[114:115]
	v_fma_f64 v[91:92], v[185:186], v[91:92], -v[93:94]
	s_wait_loadcnt 0x7
	v_mul_f64_e32 v[93:94], v[195:196], v[143:144]
	v_fma_f64 v[95:96], v[187:188], v[95:96], -v[97:98]
	v_fma_f64 v[56:57], v[56:57], v[108:109], v[201:202]
	v_fma_f64 v[108:109], v[189:190], v[108:109], -v[110:111]
	s_wait_loadcnt_dscnt 0x3
	v_mul_f64_e32 v[189:190], v[54:55], v[171:172]
	s_wait_dscnt 0x2
	v_mul_f64_e32 v[205:206], v[85:86], v[151:152]
	v_mul_f64_e32 v[185:186], v[83:84], v[147:148]
	s_wait_dscnt 0x1
	v_mul_f64_e32 v[97:98], v[48:49], v[155:156]
	;; [unrolled: 3-line block ×3, first 2 shown]
	v_mul_f64_e32 v[207:208], v[87:88], v[163:164]
	v_add_f64_e64 v[68:69], v[14:15], -v[68:69]
	v_fma_f64 v[175:176], v[58:59], v[112:113], v[175:176]
	v_mul_f64_e32 v[58:59], v[58:59], v[114:115]
	v_mul_f64_e32 v[114:115], v[60:61], v[118:119]
	;; [unrolled: 1-line block ×5, first 2 shown]
	v_fma_f64 v[93:94], v[62:63], v[141:142], v[93:94]
	v_mul_f64_e32 v[62:63], v[62:63], v[143:144]
	v_fma_f64 v[60:61], v[60:61], v[116:117], v[203:204]
	v_add_f64_e64 v[56:57], v[4:5], -v[56:57]
	v_fma_f64 v[2:3], v[2:3], v[169:170], v[189:190]
	v_fma_f64 v[143:144], v[66:67], v[149:150], v[205:206]
	v_mul_f64_e32 v[66:67], v[66:67], v[151:152]
	v_fma_f64 v[72:73], v[72:73], v[153:154], v[97:98]
	v_fma_f64 v[97:98], v[74:75], v[157:158], v[187:188]
	v_mul_f64_e32 v[74:75], v[74:75], v[159:160]
	v_mul_f64_e32 v[151:152], v[79:80], v[163:164]
	v_fma_f64 v[110:111], v[81:82], v[165:166], v[110:111]
	v_mul_f64_e32 v[81:82], v[81:82], v[167:168]
	v_fma_f64 v[64:65], v[64:65], v[145:146], v[185:186]
	v_fma_f64 v[79:80], v[79:80], v[161:162], v[207:208]
	v_fma_f64 v[14:15], v[14:15], 2.0, -v[68:69]
	v_fma_f64 v[58:59], v[191:192], v[112:113], -v[58:59]
	v_fma_f64 v[114:115], v[193:194], v[116:117], -v[114:115]
	v_fma_f64 v[83:84], v[83:84], v[145:146], -v[118:119]
	v_add_f64_e64 v[118:119], v[6:7], -v[175:176]
	v_fma_f64 v[54:55], v[54:55], v[169:170], -v[155:156]
	v_add_f64_e64 v[93:94], v[10:11], -v[93:94]
	v_fma_f64 v[62:63], v[195:196], v[141:142], -v[62:63]
	;; [unrolled: 2-line block ×3, first 2 shown]
	ds_load_b64 v[112:113], v129
	ds_load_b64 v[159:160], v132
	ds_load_b64 v[163:164], v179
	ds_load_b64 v[116:117], v100
	ds_load_b64 v[155:156], v101
	ds_load_b64 v[167:168], v103
	ds_load_b64 v[169:170], v105
	ds_load_b64 v[141:142], v183
	ds_load_b64 v[171:172], v182
	ds_load_b64 v[185:186], v181
	v_add_f64_e64 v[2:3], v[0:1], -v[2:3]
	v_fma_f64 v[4:5], v[4:5], 2.0, -v[56:57]
	v_fma_f64 v[66:67], v[85:86], v[149:150], -v[66:67]
	v_add_f64_e64 v[85:86], v[16:17], -v[120:121]
	v_add_f64_e64 v[120:121], v[18:19], -v[143:144]
	v_fma_f64 v[50:51], v[50:51], v[157:158], -v[74:75]
	v_fma_f64 v[74:75], v[87:88], v[161:162], -v[151:152]
	v_add_f64_e64 v[87:88], v[30:31], -v[197:198]
	v_fma_f64 v[81:82], v[89:90], v[165:166], -v[81:82]
	v_add_f64_e64 v[89:90], v[28:29], -v[199:200]
	v_add_f64_e64 v[64:65], v[12:13], -v[64:65]
	;; [unrolled: 1-line block ×6, first 2 shown]
	ds_load_b64 v[143:144], v102
	ds_load_b64 v[145:146], v104
	;; [unrolled: 1-line block ×4, first 2 shown]
	s_wait_dscnt 0xd
	v_add_f64_e64 v[153:154], v[112:113], -v[76:77]
	s_wait_dscnt 0xc
	v_add_f64_e64 v[157:158], v[159:160], -v[173:174]
	s_wait_dscnt 0x5
	v_add_f64_e64 v[91:92], v[171:172], -v[91:92]
	v_add_f64_e64 v[95:96], v[141:142], -v[95:96]
	v_add_f64_e64 v[108:109], v[163:164], -v[108:109]
	global_wb scope:SCOPE_SE
	s_wait_dscnt 0x0
	s_barrier_signal -1
	s_barrier_wait -1
	global_inv scope:SCOPE_SE
	v_add_f64_e64 v[161:162], v[116:117], -v[58:59]
	v_add_f64_e64 v[114:115], v[155:156], -v[114:115]
	;; [unrolled: 1-line block ×3, first 2 shown]
	v_fma_f64 v[6:7], v[6:7], 2.0, -v[118:119]
	v_add_f64_e64 v[151:152], v[52:53], -v[54:55]
	v_fma_f64 v[10:11], v[10:11], 2.0, -v[93:94]
	v_add_f64_e64 v[165:166], v[167:168], -v[62:63]
	;; [unrolled: 2-line block ×4, first 2 shown]
	v_fma_f64 v[16:17], v[16:17], 2.0, -v[85:86]
	v_fma_f64 v[18:19], v[18:19], 2.0, -v[120:121]
	v_add_f64_e64 v[187:188], v[145:146], -v[50:51]
	v_add_f64_e64 v[189:190], v[147:148], -v[74:75]
	v_fma_f64 v[30:31], v[30:31], 2.0, -v[87:88]
	v_add_f64_e64 v[81:82], v[149:150], -v[81:82]
	v_fma_f64 v[28:29], v[28:29], 2.0, -v[89:90]
	v_fma_f64 v[12:13], v[12:13], 2.0, -v[64:65]
	;; [unrolled: 1-line block ×6, first 2 shown]
	ds_store_2addr_stride64_b64 v184, v[0:1], v[2:3] offset1:15
	ds_store_2addr_stride64_b64 v129, v[14:15], v[68:69] offset1:15
	;; [unrolled: 1-line block ×8, first 2 shown]
	ds_store_2addr_stride64_b64 v78, v[10:11], v[12:13] offset0:31 offset1:33
	ds_store_2addr_stride64_b64 v78, v[64:65], v[120:121] offset0:48 offset1:50
	;; [unrolled: 1-line block ×7, first 2 shown]
	v_fma_f64 v[191:192], v[52:53], 2.0, -v[151:152]
	global_wb scope:SCOPE_SE
	s_wait_dscnt 0x0
	s_barrier_signal -1
	s_barrier_wait -1
	global_inv scope:SCOPE_SE
	ds_load_2addr_stride64_b64 v[0:3], v184 offset1:30
	ds_load_2addr_stride64_b64 v[8:11], v184 offset0:32 offset1:34
	ds_load_b64 v[56:57], v129
	ds_load_b64 v[66:67], v132
	ds_load_2addr_stride64_b64 v[28:31], v184 offset0:36 offset1:38
	ds_load_b64 v[68:69], v179
	ds_load_2addr_stride64_b64 v[12:15], v184 offset0:40 offset1:42
	ds_load_2addr_stride64_b64 v[4:7], v184 offset0:44 offset1:46
	ds_load_b64 v[60:61], v100
	ds_load_b64 v[62:63], v101
	;; [unrolled: 1-line block ×11, first 2 shown]
	ds_load_2addr_stride64_b64 v[24:27], v184 offset0:48 offset1:50
	ds_load_2addr_stride64_b64 v[20:23], v184 offset0:52 offset1:54
	ds_load_2addr_stride64_b64 v[16:19], v184 offset0:56 offset1:58
	v_fma_f64 v[112:113], v[112:113], 2.0, -v[153:154]
	v_fma_f64 v[159:160], v[159:160], 2.0, -v[157:158]
	v_fma_f64 v[171:172], v[171:172], 2.0, -v[91:92]
	v_fma_f64 v[141:142], v[141:142], 2.0, -v[95:96]
	v_fma_f64 v[163:164], v[163:164], 2.0, -v[108:109]
	v_fma_f64 v[116:117], v[116:117], 2.0, -v[161:162]
	v_fma_f64 v[155:156], v[155:156], 2.0, -v[114:115]
	v_fma_f64 v[167:168], v[167:168], 2.0, -v[165:166]
	v_fma_f64 v[169:170], v[169:170], 2.0, -v[83:84]
	v_fma_f64 v[185:186], v[185:186], 2.0, -v[173:174]
	v_fma_f64 v[143:144], v[143:144], 2.0, -v[175:176]
	v_fma_f64 v[145:146], v[145:146], 2.0, -v[187:188]
	v_fma_f64 v[147:148], v[147:148], 2.0, -v[189:190]
	v_fma_f64 v[149:150], v[149:150], 2.0, -v[81:82]
	global_wb scope:SCOPE_SE
	s_wait_dscnt 0x0
	s_barrier_signal -1
	s_barrier_wait -1
	global_inv scope:SCOPE_SE
	ds_store_2addr_stride64_b64 v184, v[191:192], v[151:152] offset1:15
	ds_store_2addr_stride64_b64 v129, v[112:113], v[153:154] offset1:15
	;; [unrolled: 1-line block ×8, first 2 shown]
	ds_store_2addr_stride64_b64 v78, v[167:168], v[169:170] offset0:31 offset1:33
	ds_store_2addr_stride64_b64 v78, v[83:84], v[173:174] offset0:48 offset1:50
	ds_store_2addr_stride64_b64 v78, v[185:186], v[143:144] offset0:35 offset1:37
	ds_store_2addr_stride64_b64 v78, v[175:176], v[187:188] offset0:52 offset1:54
	ds_store_2addr_stride64_b64 v78, v[145:146], v[147:148] offset0:39 offset1:41
	ds_store_2addr_stride64_b64 v78, v[149:150], v[165:166] offset0:43 offset1:46
	ds_store_2addr_stride64_b64 v78, v[189:190], v[81:82] offset0:56 offset1:58
	global_wb scope:SCOPE_SE
	s_wait_dscnt 0x0
	s_barrier_signal -1
	s_barrier_wait -1
	global_inv scope:SCOPE_SE
	s_and_saveexec_b32 s0, vcc_lo
	s_cbranch_execz .LBB0_15
; %bb.14:
	v_mov_b32_e32 v135, v71
	v_dual_mov_b32 v141, v71 :: v_dual_mov_b32 v132, v71
	v_mov_b32_e32 v129, v71
	v_mul_i32_i24_e32 v124, 0xffffffb8, v124
	s_delay_alu instid0(VALU_DEP_4) | instskip(NEXT) | instid1(VALU_DEP_4)
	v_lshlrev_b64_e32 v[78:79], 4, v[134:135]
	v_lshlrev_b64_e32 v[86:87], 4, v[140:141]
	v_lshlrev_b64_e32 v[90:91], 4, v[131:132]
	v_mov_b32_e32 v131, v71
	v_dual_mov_b32 v139, v71 :: v_dual_add_nc_u32 v180, v180, v124
	v_add_co_u32 v88, vcc_lo, s4, v78
	s_wait_alu 0xfffd
	v_add_co_ci_u32_e32 v89, vcc_lo, s5, v79, vcc_lo
	s_clause 0x2
	global_load_b128 v[78:81], v[46:47], off offset:30560
	global_load_b128 v[44:47], v[44:45], off offset:30560
	;; [unrolled: 1-line block ×3, first 2 shown]
	v_mov_b32_e32 v134, v71
	v_add_co_u32 v42, vcc_lo, s4, v86
	v_mul_i32_i24_e32 v176, 0xffffffb8, v122
	v_mov_b32_e32 v137, v71
	v_lshlrev_b64_e32 v[70:71], 4, v[128:129]
	s_wait_alu 0xfffd
	v_add_co_ci_u32_e32 v43, vcc_lo, s5, v87, vcc_lo
	v_add_nc_u32_e32 v176, v178, v176
	v_add_co_u32 v118, vcc_lo, s4, v90
	v_lshlrev_b64_e32 v[108:109], 4, v[130:131]
	s_wait_alu 0xfffd
	v_add_co_ci_u32_e32 v119, vcc_lo, s5, v91, vcc_lo
	v_add_co_u32 v70, vcc_lo, s4, v70
	v_lshlrev_b64_e32 v[116:117], 4, v[136:137]
	s_clause 0x3
	global_load_b128 v[86:89], v[88:89], off offset:30560
	global_load_b128 v[90:93], v[38:39], off offset:30560
	;; [unrolled: 1-line block ×4, first 2 shown]
	s_wait_alu 0xfffd
	v_add_co_ci_u32_e32 v71, vcc_lo, s5, v71, vcc_lo
	v_lshlrev_b64_e32 v[120:121], 4, v[133:134]
	v_add_co_u32 v34, vcc_lo, s4, v108
	s_wait_alu 0xfffd
	v_add_co_ci_u32_e32 v35, vcc_lo, s5, v109, vcc_lo
	v_lshlrev_b64_e32 v[98:99], 4, v[138:139]
	s_clause 0x2
	global_load_b128 v[108:111], v[70:71], off offset:30560
	global_load_b128 v[112:115], v[42:43], off offset:30560
	;; [unrolled: 1-line block ×3, first 2 shown]
	v_add_co_u32 v70, vcc_lo, s4, v116
	s_wait_alu 0xfffd
	v_add_co_ci_u32_e32 v71, vcc_lo, s5, v117, vcc_lo
	s_clause 0x1
	global_load_b128 v[116:119], v[118:119], off offset:30560
	global_load_b128 v[128:131], v[34:35], off offset:30560
	v_add_co_u32 v34, vcc_lo, s4, v120
	s_wait_alu 0xfffd
	v_add_co_ci_u32_e32 v35, vcc_lo, s5, v121, vcc_lo
	v_add_co_u32 v98, vcc_lo, s4, v98
	s_wait_alu 0xfffd
	v_add_co_ci_u32_e32 v99, vcc_lo, s5, v99, vcc_lo
	s_clause 0x2
	global_load_b128 v[132:135], v[70:71], off offset:30560
	global_load_b128 v[136:139], v[34:35], off offset:30560
	;; [unrolled: 1-line block ×3, first 2 shown]
	ds_load_2addr_stride64_b64 v[144:147], v184 offset0:36 offset1:38
	ds_load_2addr_stride64_b64 v[148:151], v184 offset0:40 offset1:42
	;; [unrolled: 1-line block ×3, first 2 shown]
	ds_load_2addr_stride64_b64 v[156:159], v184 offset1:30
	ds_load_2addr_stride64_b64 v[160:163], v184 offset0:56 offset1:58
	ds_load_2addr_stride64_b64 v[164:167], v184 offset0:44 offset1:46
	;; [unrolled: 1-line block ×4, first 2 shown]
	s_wait_loadcnt 0xe
	v_mul_f64_e32 v[98:99], v[12:13], v[80:81]
	s_wait_loadcnt 0xd
	v_mul_f64_e32 v[34:35], v[30:31], v[46:47]
	s_wait_dscnt 0x7
	v_mul_f64_e32 v[46:47], v[146:147], v[46:47]
	s_wait_loadcnt 0xc
	v_mul_f64_e32 v[70:71], v[28:29], v[84:85]
	v_mul_f64_e32 v[84:85], v[144:145], v[84:85]
	s_wait_dscnt 0x6
	v_mul_f64_e32 v[80:81], v[148:149], v[80:81]
	s_wait_loadcnt 0xa
	v_mul_f64_e32 v[124:125], v[10:11], v[92:93]
	s_wait_dscnt 0x5
	v_mul_f64_e32 v[92:93], v[154:155], v[92:93]
	s_wait_loadcnt 0x8
	v_mul_f64_e32 v[174:175], v[2:3], v[96:97]
	s_wait_dscnt 0x4
	v_mul_f64_e32 v[96:97], v[158:159], v[96:97]
	v_mul_f64_e32 v[172:173], v[8:9], v[38:39]
	;; [unrolled: 1-line block ×4, first 2 shown]
	s_wait_dscnt 0x0
	v_mul_f64_e32 v[88:89], v[170:171], v[88:89]
	s_wait_loadcnt 0x7
	v_mul_f64_e32 v[188:189], v[4:5], v[110:111]
	s_wait_loadcnt 0x6
	;; [unrolled: 2-line block ×3, first 2 shown]
	v_mul_f64_e32 v[190:191], v[14:15], v[42:43]
	v_mul_f64_e32 v[42:43], v[150:151], v[42:43]
	;; [unrolled: 1-line block ×4, first 2 shown]
	s_wait_loadcnt 0x3
	v_mul_f64_e32 v[192:193], v[6:7], v[130:131]
	v_fma_f64 v[98:99], v[78:79], v[148:149], -v[98:99]
	v_fma_f64 v[34:35], v[44:45], v[146:147], -v[34:35]
	v_fma_f64 v[30:31], v[30:31], v[44:45], v[46:47]
	v_mul_f64_e32 v[44:45], v[166:167], v[130:131]
	v_mul_f64_e32 v[46:47], v[24:25], v[118:119]
	;; [unrolled: 1-line block ×3, first 2 shown]
	v_fma_f64 v[28:29], v[28:29], v[82:83], v[84:85]
	s_wait_loadcnt 0x1
	v_mul_f64_e32 v[84:85], v[20:21], v[138:139]
	v_mul_f64_e32 v[130:131], v[120:121], v[138:139]
	v_fma_f64 v[70:71], v[82:83], v[144:145], -v[70:71]
	v_mul_f64_e32 v[82:83], v[22:23], v[134:135]
	v_mul_f64_e32 v[134:135], v[122:123], v[134:135]
	v_fma_f64 v[12:13], v[12:13], v[78:79], v[80:81]
	s_wait_loadcnt 0x0
	v_mul_f64_e32 v[78:79], v[16:17], v[142:143]
	v_mul_f64_e32 v[80:81], v[160:161], v[142:143]
	ds_load_b64 v[138:139], v183
	ds_load_b64 v[142:143], v182
	;; [unrolled: 1-line block ×4, first 2 shown]
	v_fma_f64 v[124:125], v[90:91], v[154:155], -v[124:125]
	v_fma_f64 v[90:91], v[10:11], v[90:91], v[92:93]
	v_fma_f64 v[154:155], v[94:95], v[158:159], -v[174:175]
	v_fma_f64 v[94:95], v[2:3], v[94:95], v[96:97]
	;; [unrolled: 2-line block ×3, first 2 shown]
	ds_load_b64 v[148:149], v180
	ds_load_b64 v[152:153], v176
	v_fma_f64 v[38:39], v[112:113], v[162:163], -v[184:185]
	v_fma_f64 v[150:151], v[40:41], v[150:151], -v[190:191]
	v_fma_f64 v[42:43], v[14:15], v[40:41], v[42:43]
	v_fma_f64 v[96:97], v[18:19], v[112:113], v[114:115]
	v_fma_f64 v[114:115], v[108:109], v[164:165], -v[188:189]
	v_fma_f64 v[108:109], v[4:5], v[108:109], v[110:111]
	v_fma_f64 v[110:111], v[128:129], v[166:167], -v[192:193]
	v_fma_f64 v[112:113], v[86:87], v[170:171], -v[186:187]
	v_fma_f64 v[86:87], v[26:27], v[86:87], v[88:89]
	s_wait_dscnt 0x2
	v_add_f64_e64 v[4:5], v[146:147], -v[98:99]
	v_add_f64_e64 v[8:9], v[138:139], -v[34:35]
	v_fma_f64 v[128:129], v[6:7], v[128:129], v[44:45]
	v_fma_f64 v[46:47], v[116:117], v[168:169], -v[46:47]
	v_fma_f64 v[116:117], v[24:25], v[116:117], v[118:119]
	v_add_f64_e64 v[6:7], v[76:77], -v[30:31]
	v_fma_f64 v[118:119], v[136:137], v[120:121], -v[84:85]
	v_fma_f64 v[120:121], v[20:21], v[136:137], v[130:131]
	v_add_f64_e64 v[10:11], v[74:75], -v[28:29]
	;; [unrolled: 3-line block ×3, first 2 shown]
	v_fma_f64 v[130:131], v[140:141], v[160:161], -v[78:79]
	v_fma_f64 v[132:133], v[16:17], v[140:141], v[80:81]
	ds_load_b64 v[134:135], v107
	ds_load_b64 v[136:137], v105
	;; [unrolled: 1-line block ×8, first 2 shown]
	v_add_f64_e64 v[12:13], v[142:143], -v[70:71]
	v_or_b32_e32 v30, 0x3800, v177
	s_wait_dscnt 0x9
	v_add_f64_e64 v[16:17], v[148:149], -v[124:125]
	v_add_f64_e64 v[14:15], v[66:67], -v[90:91]
	;; [unrolled: 1-line block ×4, first 2 shown]
	s_wait_dscnt 0x8
	v_add_f64_e64 v[20:21], v[152:153], -v[92:93]
	v_add_f64_e64 v[18:19], v[56:57], -v[36:37]
	s_wait_dscnt 0x7
	v_add_f64_e64 v[28:29], v[134:135], -v[38:39]
	v_add_f64_e64 v[42:43], v[60:61], -v[42:43]
	;; [unrolled: 3-line block ×3, first 2 shown]
	v_add_f64_e64 v[38:39], v[62:63], -v[108:109]
	v_add_f64_e64 v[80:81], v[140:141], -v[110:111]
	;; [unrolled: 1-line block ×5, first 2 shown]
	v_fma_f64 v[100:101], v[138:139], 2.0, -v[8:9]
	v_fma_f64 v[70:71], v[146:147], 2.0, -v[4:5]
	v_add_f64_e64 v[78:79], v[58:59], -v[128:129]
	v_add_f64_e64 v[84:85], v[136:137], -v[46:47]
	;; [unrolled: 1-line block ×3, first 2 shown]
	v_fma_f64 v[98:99], v[76:77], 2.0, -v[6:7]
	s_wait_dscnt 0x0
	v_add_f64_e64 v[92:93], v[166:167], -v[118:119]
	v_add_f64_e64 v[90:91], v[52:53], -v[120:121]
	v_fma_f64 v[74:75], v[74:75], 2.0, -v[10:11]
	v_add_f64_e64 v[88:89], v[164:165], -v[88:89]
	v_add_f64_e64 v[86:87], v[54:55], -v[122:123]
	v_fma_f64 v[68:69], v[68:69], 2.0, -v[2:3]
	v_add_f64_e64 v[96:97], v[162:163], -v[130:131]
	v_add_f64_e64 v[94:95], v[48:49], -v[132:133]
	v_add_co_u32 v46, vcc_lo, s8, v126
	v_fma_f64 v[76:77], v[142:143], 2.0, -v[12:13]
	s_wait_alu 0xfffd
	v_add_co_ci_u32_e32 v47, vcc_lo, s9, v127, vcc_lo
	v_fma_f64 v[104:105], v[148:149], 2.0, -v[16:17]
	v_fma_f64 v[112:113], v[156:157], 2.0, -v[24:25]
	;; [unrolled: 1-line block ×6, first 2 shown]
	v_add_co_u32 v0, vcc_lo, v46, v32
	v_or_b32_e32 v150, 0xb800, v177
	v_fma_f64 v[116:117], v[134:135], 2.0, -v[28:29]
	s_wait_alu 0xfffd
	v_add_co_ci_u32_e32 v1, vcc_lo, v47, v33, vcc_lo
	v_fma_f64 v[124:125], v[160:161], 2.0, -v[44:45]
	v_fma_f64 v[122:123], v[60:61], 2.0, -v[42:43]
	;; [unrolled: 1-line block ×8, first 2 shown]
	v_add_co_u32 v30, vcc_lo, v46, v30
	v_fma_f64 v[58:59], v[58:59], 2.0, -v[78:79]
	v_fma_f64 v[128:129], v[136:137], 2.0, -v[84:85]
	;; [unrolled: 1-line block ×5, first 2 shown]
	s_wait_alu 0xfffd
	v_add_co_ci_u32_e32 v31, vcc_lo, 0, v47, vcc_lo
	v_fma_f64 v[56:57], v[164:165], 2.0, -v[88:89]
	v_fma_f64 v[54:55], v[54:55], 2.0, -v[86:87]
	;; [unrolled: 1-line block ×4, first 2 shown]
	v_add_co_u32 v32, vcc_lo, v46, v150
	s_wait_alu 0xfffd
	v_add_co_ci_u32_e32 v33, vcc_lo, 0, v47, vcc_lo
	s_clause 0x1d
	global_store_b128 v[0:1], v[18:21], off offset:32768
	global_store_b128 v[0:1], v[14:17], off offset:34816
	;; [unrolled: 1-line block ×6, first 2 shown]
	global_store_b128 v[0:1], v[110:113], off
	global_store_b128 v[0:1], v[106:109], off offset:2048
	global_store_b128 v[0:1], v[102:105], off offset:4096
	;; [unrolled: 1-line block ×7, first 2 shown]
	global_store_b128 v[30:31], v[118:121], off
	global_store_b128 v[30:31], v[38:41], off offset:30720
	global_store_b128 v[0:1], v[58:61], off offset:16384
	global_store_b128 v[32:33], v[78:81], off
	global_store_b128 v[0:1], v[126:129], off offset:18432
	global_store_b128 v[0:1], v[64:67], off offset:20480
	;; [unrolled: 1-line block ×12, first 2 shown]
.LBB0_15:
	s_nop 0
	s_sendmsg sendmsg(MSG_DEALLOC_VGPRS)
	s_endpgm
	.section	.rodata,"a",@progbits
	.p2align	6, 0x0
	.amdhsa_kernel fft_rtc_back_len3840_factors_10_6_2_2_2_2_2_2_wgs_128_tpt_128_halfLds_dp_ip_CI_unitstride_sbrr_dirReg
		.amdhsa_group_segment_fixed_size 0
		.amdhsa_private_segment_fixed_size 0
		.amdhsa_kernarg_size 88
		.amdhsa_user_sgpr_count 2
		.amdhsa_user_sgpr_dispatch_ptr 0
		.amdhsa_user_sgpr_queue_ptr 0
		.amdhsa_user_sgpr_kernarg_segment_ptr 1
		.amdhsa_user_sgpr_dispatch_id 0
		.amdhsa_user_sgpr_private_segment_size 0
		.amdhsa_wavefront_size32 1
		.amdhsa_uses_dynamic_stack 0
		.amdhsa_enable_private_segment 0
		.amdhsa_system_sgpr_workgroup_id_x 1
		.amdhsa_system_sgpr_workgroup_id_y 0
		.amdhsa_system_sgpr_workgroup_id_z 0
		.amdhsa_system_sgpr_workgroup_info 0
		.amdhsa_system_vgpr_workitem_id 0
		.amdhsa_next_free_vgpr 222
		.amdhsa_next_free_sgpr 32
		.amdhsa_reserve_vcc 1
		.amdhsa_float_round_mode_32 0
		.amdhsa_float_round_mode_16_64 0
		.amdhsa_float_denorm_mode_32 3
		.amdhsa_float_denorm_mode_16_64 3
		.amdhsa_fp16_overflow 0
		.amdhsa_workgroup_processor_mode 1
		.amdhsa_memory_ordered 1
		.amdhsa_forward_progress 0
		.amdhsa_round_robin_scheduling 0
		.amdhsa_exception_fp_ieee_invalid_op 0
		.amdhsa_exception_fp_denorm_src 0
		.amdhsa_exception_fp_ieee_div_zero 0
		.amdhsa_exception_fp_ieee_overflow 0
		.amdhsa_exception_fp_ieee_underflow 0
		.amdhsa_exception_fp_ieee_inexact 0
		.amdhsa_exception_int_div_zero 0
	.end_amdhsa_kernel
	.text
.Lfunc_end0:
	.size	fft_rtc_back_len3840_factors_10_6_2_2_2_2_2_2_wgs_128_tpt_128_halfLds_dp_ip_CI_unitstride_sbrr_dirReg, .Lfunc_end0-fft_rtc_back_len3840_factors_10_6_2_2_2_2_2_2_wgs_128_tpt_128_halfLds_dp_ip_CI_unitstride_sbrr_dirReg
                                        ; -- End function
	.section	.AMDGPU.csdata,"",@progbits
; Kernel info:
; codeLenInByte = 24540
; NumSgprs: 34
; NumVgprs: 222
; ScratchSize: 0
; MemoryBound: 1
; FloatMode: 240
; IeeeMode: 1
; LDSByteSize: 0 bytes/workgroup (compile time only)
; SGPRBlocks: 4
; VGPRBlocks: 27
; NumSGPRsForWavesPerEU: 34
; NumVGPRsForWavesPerEU: 222
; Occupancy: 6
; WaveLimiterHint : 1
; COMPUTE_PGM_RSRC2:SCRATCH_EN: 0
; COMPUTE_PGM_RSRC2:USER_SGPR: 2
; COMPUTE_PGM_RSRC2:TRAP_HANDLER: 0
; COMPUTE_PGM_RSRC2:TGID_X_EN: 1
; COMPUTE_PGM_RSRC2:TGID_Y_EN: 0
; COMPUTE_PGM_RSRC2:TGID_Z_EN: 0
; COMPUTE_PGM_RSRC2:TIDIG_COMP_CNT: 0
	.text
	.p2alignl 7, 3214868480
	.fill 96, 4, 3214868480
	.type	__hip_cuid_6f7431ad850fb6f2,@object ; @__hip_cuid_6f7431ad850fb6f2
	.section	.bss,"aw",@nobits
	.globl	__hip_cuid_6f7431ad850fb6f2
__hip_cuid_6f7431ad850fb6f2:
	.byte	0                               ; 0x0
	.size	__hip_cuid_6f7431ad850fb6f2, 1

	.ident	"AMD clang version 19.0.0git (https://github.com/RadeonOpenCompute/llvm-project roc-6.4.0 25133 c7fe45cf4b819c5991fe208aaa96edf142730f1d)"
	.section	".note.GNU-stack","",@progbits
	.addrsig
	.addrsig_sym __hip_cuid_6f7431ad850fb6f2
	.amdgpu_metadata
---
amdhsa.kernels:
  - .args:
      - .actual_access:  read_only
        .address_space:  global
        .offset:         0
        .size:           8
        .value_kind:     global_buffer
      - .offset:         8
        .size:           8
        .value_kind:     by_value
      - .actual_access:  read_only
        .address_space:  global
        .offset:         16
        .size:           8
        .value_kind:     global_buffer
      - .actual_access:  read_only
        .address_space:  global
        .offset:         24
        .size:           8
        .value_kind:     global_buffer
      - .offset:         32
        .size:           8
        .value_kind:     by_value
      - .actual_access:  read_only
        .address_space:  global
        .offset:         40
        .size:           8
        .value_kind:     global_buffer
      - .actual_access:  read_only
        .address_space:  global
        .offset:         48
        .size:           8
        .value_kind:     global_buffer
      - .offset:         56
        .size:           4
        .value_kind:     by_value
      - .actual_access:  read_only
        .address_space:  global
        .offset:         64
        .size:           8
        .value_kind:     global_buffer
      - .actual_access:  read_only
        .address_space:  global
        .offset:         72
        .size:           8
        .value_kind:     global_buffer
      - .address_space:  global
        .offset:         80
        .size:           8
        .value_kind:     global_buffer
    .group_segment_fixed_size: 0
    .kernarg_segment_align: 8
    .kernarg_segment_size: 88
    .language:       OpenCL C
    .language_version:
      - 2
      - 0
    .max_flat_workgroup_size: 128
    .name:           fft_rtc_back_len3840_factors_10_6_2_2_2_2_2_2_wgs_128_tpt_128_halfLds_dp_ip_CI_unitstride_sbrr_dirReg
    .private_segment_fixed_size: 0
    .sgpr_count:     34
    .sgpr_spill_count: 0
    .symbol:         fft_rtc_back_len3840_factors_10_6_2_2_2_2_2_2_wgs_128_tpt_128_halfLds_dp_ip_CI_unitstride_sbrr_dirReg.kd
    .uniform_work_group_size: 1
    .uses_dynamic_stack: false
    .vgpr_count:     222
    .vgpr_spill_count: 0
    .wavefront_size: 32
    .workgroup_processor_mode: 1
amdhsa.target:   amdgcn-amd-amdhsa--gfx1201
amdhsa.version:
  - 1
  - 2
...

	.end_amdgpu_metadata
